;; amdgpu-corpus repo=ROCm/rocFFT kind=compiled arch=gfx1030 opt=O3
	.text
	.amdgcn_target "amdgcn-amd-amdhsa--gfx1030"
	.amdhsa_code_object_version 6
	.protected	bluestein_single_back_len390_dim1_dp_op_CI_CI ; -- Begin function bluestein_single_back_len390_dim1_dp_op_CI_CI
	.globl	bluestein_single_back_len390_dim1_dp_op_CI_CI
	.p2align	8
	.type	bluestein_single_back_len390_dim1_dp_op_CI_CI,@function
bluestein_single_back_len390_dim1_dp_op_CI_CI: ; @bluestein_single_back_len390_dim1_dp_op_CI_CI
; %bb.0:
	s_mov_b64 s[50:51], s[2:3]
	s_mov_b64 s[48:49], s[0:1]
	s_load_dwordx4 s[0:3], s[4:5], 0x28
	v_mul_u32_u24_e32 v1, 0x691, v0
	s_add_u32 s48, s48, s7
	s_addc_u32 s49, s49, 0
	v_lshrrev_b32_e32 v1, 16, v1
	v_mad_u64_u32 v[132:133], null, s6, 3, v[1:2]
	v_mov_b32_e32 v133, 0
                                        ; kill: def $vgpr2 killed $sgpr0 killed $exec
	s_waitcnt lgkmcnt(0)
	v_cmp_gt_u64_e32 vcc_lo, s[0:1], v[132:133]
	s_and_saveexec_b32 s0, vcc_lo
	s_cbranch_execz .LBB0_23
; %bb.1:
	v_mul_hi_u32 v2, 0xaaaaaaab, v132
	s_clause 0x1
	s_load_dwordx2 s[14:15], s[4:5], 0x0
	s_load_dwordx2 s[12:13], s[4:5], 0x38
	v_mul_lo_u16 v1, v1, 39
	v_sub_nc_u16 v0, v0, v1
	v_lshrrev_b32_e32 v2, 1, v2
	v_and_b32_e32 v234, 0xffff, v0
	v_lshl_add_u32 v2, v2, 1, v2
	v_cmp_gt_u16_e32 vcc_lo, 30, v0
	v_lshlrev_b32_e32 v0, 4, v234
	v_sub_nc_u32_e32 v1, v132, v2
	buffer_store_dword v0, off, s[48:51], 0 ; 4-byte Folded Spill
	v_mul_u32_u24_e32 v213, 0x186, v1
	v_lshlrev_b32_e32 v235, 4, v213
	s_and_saveexec_b32 s1, vcc_lo
	s_cbranch_execz .LBB0_3
; %bb.2:
	s_load_dwordx2 s[6:7], s[4:5], 0x18
	v_lshlrev_b32_e32 v122, 4, v234
	s_waitcnt lgkmcnt(0)
	v_add_co_u32 v26, s0, s14, v122
	v_add_co_ci_u32_e64 v27, null, s15, 0, s0
	v_add_co_u32 v32, s0, 0x800, v26
	v_add_co_ci_u32_e64 v33, s0, 0, v27, s0
	v_add_co_u32 v96, s0, 0x1000, v26
	v_add_co_ci_u32_e64 v97, s0, 0, v27, s0
	s_load_dwordx4 s[8:11], s[6:7], 0x0
	s_waitcnt lgkmcnt(0)
	v_mad_u64_u32 v[20:21], null, s10, v132, 0
	v_mad_u64_u32 v[22:23], null, s8, v234, 0
	s_mul_i32 s6, s9, 0x1e0
	s_mul_hi_u32 s7, s8, 0x1e0
	s_add_i32 s7, s7, s6
	v_mov_b32_e32 v0, v21
	v_mov_b32_e32 v8, v23
	v_mad_u64_u32 v[23:24], null, s11, v132, v[0:1]
	v_mad_u64_u32 v[24:25], null, s9, v234, v[8:9]
	s_clause 0x4
	global_load_dwordx4 v[0:3], v122, s[14:15]
	global_load_dwordx4 v[4:7], v122, s[14:15] offset:480
	global_load_dwordx4 v[8:11], v122, s[14:15] offset:960
	;; [unrolled: 1-line block ×4, first 2 shown]
	v_mov_b32_e32 v21, v23
	v_mov_b32_e32 v23, v24
	v_lshlrev_b64 v[20:21], 4, v[20:21]
	v_lshlrev_b64 v[22:23], 4, v[22:23]
	v_add_co_u32 v20, s0, s2, v20
	v_add_co_ci_u32_e64 v21, s0, s3, v21, s0
	s_mul_i32 s2, s8, 0x1e0
	v_add_co_u32 v44, s0, v20, v22
	v_add_co_ci_u32_e64 v45, s0, v21, v23, s0
	s_clause 0x1
	global_load_dwordx4 v[20:23], v[32:33], off offset:352
	global_load_dwordx4 v[24:27], v[32:33], off offset:832
	v_add_co_u32 v48, s0, v44, s2
	v_add_co_ci_u32_e64 v49, s0, s7, v45, s0
	s_clause 0x1
	global_load_dwordx4 v[28:31], v[32:33], off offset:1312
	global_load_dwordx4 v[32:35], v[32:33], off offset:1792
	;; [unrolled: 5-line block ×3, first 2 shown]
	v_add_co_u32 v56, s0, v52, s2
	v_add_co_ci_u32_e64 v57, s0, s7, v53, s0
	s_clause 0x1
	global_load_dwordx4 v[44:47], v[44:45], off
	global_load_dwordx4 v[48:51], v[48:49], off
	v_add_co_u32 v60, s0, v56, s2
	v_add_co_ci_u32_e64 v61, s0, s7, v57, s0
	s_clause 0x1
	global_load_dwordx4 v[52:55], v[52:53], off
	global_load_dwordx4 v[56:59], v[56:57], off
	v_add_co_u32 v64, s0, v60, s2
	v_add_co_ci_u32_e64 v65, s0, s7, v61, s0
	global_load_dwordx4 v[60:63], v[60:61], off
	v_add_co_u32 v68, s0, v64, s2
	v_add_co_ci_u32_e64 v69, s0, s7, v65, s0
	;; [unrolled: 3-line block ×7, first 2 shown]
	v_add_co_u32 v100, s0, v88, s2
	v_add_co_ci_u32_e64 v101, s0, s7, v89, s0
	global_load_dwordx4 v[84:87], v[84:85], off
	global_load_dwordx4 v[88:91], v[88:89], off
	s_clause 0x1
	global_load_dwordx4 v[92:95], v[96:97], off offset:1184
	global_load_dwordx4 v[96:99], v[96:97], off offset:1664
	global_load_dwordx4 v[100:103], v[100:101], off
	s_waitcnt vmcnt(14)
	v_mul_f64 v[104:105], v[46:47], v[2:3]
	v_mul_f64 v[2:3], v[44:45], v[2:3]
	s_waitcnt vmcnt(13)
	v_mul_f64 v[106:107], v[50:51], v[6:7]
	v_mul_f64 v[6:7], v[48:49], v[6:7]
	;; [unrolled: 3-line block ×5, first 2 shown]
	v_fma_f64 v[44:45], v[44:45], v[0:1], v[104:105]
	s_waitcnt vmcnt(9)
	v_mul_f64 v[104:105], v[66:67], v[22:23]
	v_mul_f64 v[22:23], v[64:65], v[22:23]
	v_fma_f64 v[46:47], v[46:47], v[0:1], -v[2:3]
	v_fma_f64 v[0:1], v[48:49], v[4:5], v[106:107]
	s_waitcnt vmcnt(8)
	v_mul_f64 v[48:49], v[70:71], v[26:27]
	v_mul_f64 v[26:27], v[68:69], v[26:27]
	v_fma_f64 v[2:3], v[50:51], v[4:5], -v[6:7]
	s_waitcnt vmcnt(7)
	v_mul_f64 v[50:51], v[74:75], v[30:31]
	v_mul_f64 v[30:31], v[72:73], v[30:31]
	s_waitcnt vmcnt(6)
	v_mul_f64 v[106:107], v[78:79], v[34:35]
	v_mul_f64 v[34:35], v[76:77], v[34:35]
	v_fma_f64 v[4:5], v[52:53], v[8:9], v[108:109]
	v_fma_f64 v[6:7], v[54:55], v[8:9], -v[10:11]
	s_waitcnt vmcnt(5)
	v_mul_f64 v[114:115], v[82:83], v[38:39]
	v_mul_f64 v[38:39], v[80:81], v[38:39]
	v_fma_f64 v[8:9], v[56:57], v[12:13], v[110:111]
	v_fma_f64 v[10:11], v[58:59], v[12:13], -v[14:15]
	v_fma_f64 v[12:13], v[60:61], v[16:17], v[112:113]
	v_fma_f64 v[14:15], v[62:63], v[16:17], -v[18:19]
	s_waitcnt vmcnt(4)
	v_mul_f64 v[116:117], v[86:87], v[42:43]
	v_mul_f64 v[42:43], v[84:85], v[42:43]
	s_waitcnt vmcnt(2)
	v_mul_f64 v[118:119], v[90:91], v[94:95]
	v_mul_f64 v[94:95], v[88:89], v[94:95]
	;; [unrolled: 3-line block ×3, first 2 shown]
	v_fma_f64 v[16:17], v[64:65], v[20:21], v[104:105]
	v_fma_f64 v[18:19], v[66:67], v[20:21], -v[22:23]
	v_fma_f64 v[20:21], v[68:69], v[24:25], v[48:49]
	v_fma_f64 v[22:23], v[70:71], v[24:25], -v[26:27]
	;; [unrolled: 2-line block ×4, first 2 shown]
	v_lshl_add_u32 v52, v234, 4, v235
	v_add_nc_u32_e32 v53, v235, v122
	v_fma_f64 v[32:33], v[80:81], v[36:37], v[114:115]
	v_fma_f64 v[34:35], v[82:83], v[36:37], -v[38:39]
	v_fma_f64 v[36:37], v[84:85], v[40:41], v[116:117]
	v_fma_f64 v[38:39], v[86:87], v[40:41], -v[42:43]
	;; [unrolled: 2-line block ×4, first 2 shown]
	ds_write_b128 v52, v[44:47]
	ds_write_b128 v53, v[0:3] offset:480
	ds_write_b128 v53, v[4:7] offset:960
	;; [unrolled: 1-line block ×12, first 2 shown]
.LBB0_3:
	s_or_b32 exec_lo, exec_lo, s1
	s_waitcnt lgkmcnt(0)
	s_waitcnt_vscnt null, 0x0
	s_barrier
	buffer_gl0_inv
                                        ; implicit-def: $vgpr4_vgpr5
                                        ; implicit-def: $vgpr40_vgpr41
                                        ; implicit-def: $vgpr48_vgpr49
                                        ; implicit-def: $vgpr52_vgpr53
                                        ; implicit-def: $vgpr64_vgpr65
                                        ; implicit-def: $vgpr60_vgpr61
                                        ; implicit-def: $vgpr56_vgpr57
                                        ; implicit-def: $vgpr36_vgpr37
                                        ; implicit-def: $vgpr32_vgpr33
                                        ; implicit-def: $vgpr28_vgpr29
                                        ; implicit-def: $vgpr20_vgpr21
                                        ; implicit-def: $vgpr16_vgpr17
                                        ; implicit-def: $vgpr8_vgpr9
	s_and_saveexec_b32 s0, vcc_lo
	s_cbranch_execz .LBB0_5
; %bb.4:
	v_lshlrev_b32_e32 v0, 4, v234
	v_lshl_add_u32 v0, v213, 4, v0
	ds_read_b128 v[4:7], v0
	ds_read_b128 v[40:43], v0 offset:480
	ds_read_b128 v[48:51], v0 offset:960
	;; [unrolled: 1-line block ×12, first 2 shown]
.LBB0_5:
	s_or_b32 exec_lo, exec_lo, s0
	s_waitcnt lgkmcnt(0)
	v_add_f64 v[98:99], v[42:43], -v[10:11]
	v_add_f64 v[104:105], v[40:41], -v[8:9]
	s_mov_b32 s0, 0x4267c47c
	s_mov_b32 s1, 0xbfddbe06
	v_add_f64 v[96:97], v[40:41], v[8:9]
	v_add_f64 v[100:101], v[42:43], v[10:11]
	v_add_f64 v[76:77], v[50:51], -v[18:19]
	v_add_f64 v[68:69], v[48:49], -v[16:17]
	s_mov_b32 s8, 0xe00740e9
	s_mov_b32 s10, 0x42a4c3d2
	s_mov_b32 s18, 0x66966769
	s_mov_b32 s22, 0x2ef20147
	s_mov_b32 s9, 0x3fec55a7
	s_mov_b32 s11, 0xbfea55e2
	s_mov_b32 s19, 0xbfefc445
	s_mov_b32 s23, 0xbfedeba7
	v_add_f64 v[70:71], v[48:49], v[16:17]
	v_add_f64 v[78:79], v[50:51], v[18:19]
	v_add_f64 v[72:73], v[52:53], -v[20:21]
	s_mov_b32 s16, 0x1ea71119
	s_mov_b32 s20, 0xebaa3ed8
	;; [unrolled: 1-line block ×3, first 2 shown]
	v_mul_f64 v[110:111], v[98:99], s[0:1]
	v_mul_f64 v[112:113], v[104:105], s[0:1]
	;; [unrolled: 1-line block ×10, first 2 shown]
	s_mov_b32 s42, 0x24c2f84
	s_mov_b32 s26, 0x4bc48dbf
	;; [unrolled: 1-line block ×7, first 2 shown]
	v_add_f64 v[82:83], v[54:55], -v[22:23]
	v_add_f64 v[86:87], v[54:55], v[22:23]
	v_mul_f64 v[159:160], v[72:73], s[18:19]
	v_mul_f64 v[141:142], v[76:77], s[22:23]
	;; [unrolled: 1-line block ×3, first 2 shown]
	v_fma_f64 v[0:1], v[96:97], s[8:9], v[110:111]
	v_fma_f64 v[2:3], v[100:101], s[8:9], -v[112:113]
	v_fma_f64 v[24:25], v[96:97], s[16:17], v[133:134]
	v_fma_f64 v[26:27], v[100:101], s[16:17], -v[139:140]
	v_fma_f64 v[44:45], v[96:97], s[20:21], v[173:174]
	v_mul_f64 v[128:129], v[76:77], s[26:27]
	v_fma_f64 v[12:13], v[70:71], s[16:17], v[116:117]
	v_fma_f64 v[14:15], v[78:79], s[16:17], -v[118:119]
	v_fma_f64 v[46:47], v[100:101], s[20:21], -v[179:180]
	v_mul_f64 v[135:136], v[68:69], s[26:27]
	v_fma_f64 v[114:115], v[96:97], s[24:25], v[201:202]
	v_mul_f64 v[124:125], v[76:77], s[42:43]
	v_fma_f64 v[120:121], v[100:101], s[24:25], -v[205:206]
	v_mul_f64 v[126:127], v[68:69], s[42:43]
	s_mov_b32 s30, 0xd0032e0c
	s_mov_b32 s34, 0x93053d00
	;; [unrolled: 1-line block ×8, first 2 shown]
	v_add_f64 v[0:1], v[4:5], v[0:1]
	v_add_f64 v[2:3], v[6:7], v[2:3]
	;; [unrolled: 1-line block ×3, first 2 shown]
	v_add_f64 v[80:81], v[64:65], -v[28:29]
	v_add_f64 v[90:91], v[66:67], -v[30:31]
	v_mul_f64 v[155:156], v[82:83], s[18:19]
	v_mul_f64 v[153:154], v[82:83], s[26:27]
	v_mul_f64 v[157:158], v[72:73], s[26:27]
	v_fma_f64 v[151:152], v[86:87], s[20:21], -v[159:160]
	v_fma_f64 v[147:148], v[70:71], s[24:25], v[141:142]
	v_fma_f64 v[161:162], v[78:79], s[24:25], -v[143:144]
	v_add_f64 v[24:25], v[4:5], v[24:25]
	v_add_f64 v[26:27], v[6:7], v[26:27]
	v_mul_f64 v[145:146], v[82:83], s[36:37]
	v_mul_f64 v[149:150], v[72:73], s[36:37]
	v_add_f64 v[163:164], v[4:5], v[114:115]
	v_fma_f64 v[169:170], v[70:71], s[30:31], v[124:125]
	v_add_f64 v[120:121], v[6:7], v[120:121]
	v_fma_f64 v[175:176], v[78:79], s[30:31], -v[126:127]
	v_mul_f64 v[130:131], v[82:83], s[38:39]
	v_mul_f64 v[137:138], v[72:73], s[38:39]
	v_add_f64 v[84:85], v[64:65], v[28:29]
	v_add_f64 v[0:1], v[12:13], v[0:1]
	;; [unrolled: 1-line block ×4, first 2 shown]
	v_fma_f64 v[14:15], v[70:71], s[34:35], v[128:129]
	v_add_f64 v[44:45], v[6:7], v[46:47]
	v_fma_f64 v[46:47], v[78:79], s[34:35], -v[135:136]
	v_add_f64 v[92:93], v[66:67], v[30:31]
	v_add_f64 v[88:89], v[60:61], -v[32:33]
	v_add_f64 v[94:95], v[62:63], -v[34:35]
	v_mul_f64 v[167:168], v[90:91], s[22:23]
	v_mul_f64 v[171:172], v[80:81], s[22:23]
	v_fma_f64 v[122:123], v[74:75], s[20:21], v[155:156]
	v_add_f64 v[24:25], v[147:148], v[24:25]
	v_add_f64 v[26:27], v[161:162], v[26:27]
	v_fma_f64 v[181:182], v[74:75], s[34:35], v[153:154]
	v_fma_f64 v[183:184], v[86:87], s[34:35], -v[157:158]
	v_mul_f64 v[177:178], v[90:91], s[42:43]
	v_mul_f64 v[185:186], v[80:81], s[42:43]
	;; [unrolled: 1-line block ×4, first 2 shown]
	v_add_f64 v[163:164], v[169:170], v[163:164]
	v_add_f64 v[169:170], v[175:176], v[120:121]
	v_fma_f64 v[197:198], v[74:75], s[8:9], v[130:131]
	v_fma_f64 v[203:204], v[86:87], s[8:9], -v[137:138]
	v_mul_f64 v[147:148], v[90:91], s[18:19]
	v_add_f64 v[12:13], v[14:15], v[12:13]
	v_add_f64 v[2:3], v[151:152], v[2:3]
	;; [unrolled: 1-line block ×3, first 2 shown]
	v_fma_f64 v[44:45], v[74:75], s[24:25], v[145:146]
	v_fma_f64 v[46:47], v[86:87], s[24:25], -v[149:150]
	v_mul_f64 v[151:152], v[80:81], s[18:19]
	s_mov_b32 s29, 0xbfe5384d
	s_mov_b32 s28, s42
	;; [unrolled: 1-line block ×6, first 2 shown]
	v_add_f64 v[102:103], v[60:61], v[32:33]
	v_add_f64 v[108:109], v[62:63], v[34:35]
	v_add_f64 v[106:107], v[56:57], -v[36:37]
	v_add_f64 v[114:115], v[58:59], -v[38:39]
	v_mul_f64 v[189:190], v[94:95], s[28:29]
	v_mul_f64 v[193:194], v[88:89], s[28:29]
	v_fma_f64 v[187:188], v[84:85], s[24:25], v[167:168]
	v_fma_f64 v[191:192], v[92:93], s[24:25], -v[171:172]
	v_add_f64 v[0:1], v[122:123], v[0:1]
	v_add_f64 v[24:25], v[181:182], v[24:25]
	;; [unrolled: 1-line block ×3, first 2 shown]
	v_fma_f64 v[181:182], v[84:85], s[30:31], v[177:178]
	v_fma_f64 v[207:208], v[92:93], s[30:31], -v[185:186]
	v_mul_f64 v[195:196], v[94:95], s[40:41]
	v_mul_f64 v[199:200], v[88:89], s[40:41]
	v_add_f64 v[12:13], v[44:45], v[12:13]
	v_add_f64 v[14:15], v[46:47], v[14:15]
	v_fma_f64 v[44:45], v[84:85], s[8:9], v[161:162]
	v_fma_f64 v[46:47], v[92:93], s[8:9], -v[165:166]
	v_mul_f64 v[175:176], v[94:95], s[10:11]
	v_mul_f64 v[183:184], v[88:89], s[10:11]
	v_add_f64 v[214:215], v[197:198], v[163:164]
	v_add_f64 v[216:217], v[203:204], v[169:170]
	v_fma_f64 v[218:219], v[84:85], s[20:21], v[147:148]
	v_fma_f64 v[220:221], v[92:93], s[20:21], -v[151:152]
	v_mul_f64 v[163:164], v[94:95], s[46:47]
	v_mul_f64 v[169:170], v[88:89], s[46:47]
	s_mov_b32 s45, 0x3fea55e2
	s_mov_b32 s44, s10
	v_add_f64 v[120:121], v[56:57], v[36:37]
	v_add_f64 v[122:123], v[58:59], v[38:39]
	v_mul_f64 v[209:210], v[114:115], s[26:27]
	v_mul_f64 v[211:212], v[106:107], s[26:27]
	v_fma_f64 v[222:223], v[102:103], s[30:31], v[189:190]
	v_fma_f64 v[224:225], v[108:109], s[30:31], -v[193:194]
	v_add_f64 v[0:1], v[187:188], v[0:1]
	v_add_f64 v[2:3], v[191:192], v[2:3]
	v_add_f64 v[24:25], v[181:182], v[24:25]
	v_add_f64 v[26:27], v[207:208], v[26:27]
	v_fma_f64 v[226:227], v[102:103], s[20:21], v[195:196]
	v_fma_f64 v[228:229], v[108:109], s[20:21], -v[199:200]
	v_mul_f64 v[203:204], v[114:115], s[38:39]
	v_mul_f64 v[207:208], v[106:107], s[38:39]
	v_add_f64 v[12:13], v[44:45], v[12:13]
	v_add_f64 v[14:15], v[46:47], v[14:15]
	v_fma_f64 v[44:45], v[102:103], s[16:17], v[175:176]
	v_fma_f64 v[46:47], v[108:109], s[16:17], -v[183:184]
	v_mul_f64 v[191:192], v[114:115], s[28:29]
	v_mul_f64 v[197:198], v[106:107], s[28:29]
	v_add_f64 v[214:215], v[218:219], v[214:215]
	v_add_f64 v[216:217], v[220:221], v[216:217]
	v_fma_f64 v[218:219], v[102:103], s[34:35], v[163:164]
	v_fma_f64 v[220:221], v[108:109], s[34:35], -v[169:170]
	v_mul_f64 v[181:182], v[114:115], s[44:45]
	v_mul_f64 v[187:188], v[106:107], s[44:45]
	v_fma_f64 v[230:231], v[120:121], s[34:35], v[209:210]
	v_fma_f64 v[232:233], v[122:123], s[34:35], -v[211:212]
	v_add_f64 v[0:1], v[222:223], v[0:1]
	v_add_f64 v[2:3], v[224:225], v[2:3]
	s_clause 0x1
	s_load_dwordx2 s[6:7], s[4:5], 0x20
	s_load_dwordx2 s[2:3], s[4:5], 0x8
	v_add_f64 v[24:25], v[226:227], v[24:25]
	v_add_f64 v[26:27], v[228:229], v[26:27]
	v_fma_f64 v[222:223], v[120:121], s[8:9], v[203:204]
	v_fma_f64 v[224:225], v[122:123], s[8:9], -v[207:208]
	v_add_f64 v[12:13], v[44:45], v[12:13]
	v_add_f64 v[14:15], v[46:47], v[14:15]
	v_fma_f64 v[226:227], v[120:121], s[30:31], v[191:192]
	v_fma_f64 v[228:229], v[122:123], s[30:31], -v[197:198]
	;; [unrolled: 4-line block ×3, first 2 shown]
	v_add_f64 v[0:1], v[230:231], v[0:1]
	v_add_f64 v[2:3], v[232:233], v[2:3]
	;; [unrolled: 1-line block ×8, first 2 shown]
	v_mul_lo_u16 v214, v234, 13
	buffer_store_dword v214, off, s[48:51], 0 offset:24 ; 4-byte Folded Spill
	s_waitcnt lgkmcnt(0)
	s_waitcnt_vscnt null, 0x0
	s_barrier
	buffer_gl0_inv
	s_and_saveexec_b32 s4, vcc_lo
	s_cbranch_execz .LBB0_7
; %bb.6:
	v_add_f64 v[40:41], v[4:5], v[40:41]
	v_add_f64 v[42:43], v[6:7], v[42:43]
	;; [unrolled: 1-line block ×4, first 2 shown]
	v_mul_f64 v[48:49], v[98:99], s[28:29]
	v_add_f64 v[40:41], v[40:41], v[52:53]
	v_add_f64 v[42:43], v[42:43], v[54:55]
	v_mul_f64 v[54:55], v[96:97], s[8:9]
	v_fma_f64 v[52:53], v[96:97], s[30:31], v[48:49]
	v_fma_f64 v[48:49], v[96:97], s[30:31], -v[48:49]
	v_add_f64 v[40:41], v[40:41], v[64:65]
	v_add_f64 v[42:43], v[42:43], v[66:67]
	v_add_f64 v[54:55], v[54:55], -v[110:111]
	v_add_f64 v[52:53], v[4:5], v[52:53]
	v_add_f64 v[48:49], v[4:5], v[48:49]
	v_mul_f64 v[64:65], v[90:91], s[44:45]
	v_mul_f64 v[66:67], v[108:109], s[24:25]
	v_mul_f64 v[110:111], v[86:87], s[20:21]
	v_add_f64 v[40:41], v[40:41], v[60:61]
	v_add_f64 v[42:43], v[42:43], v[62:63]
	v_mul_f64 v[62:63], v[92:93], s[16:17]
	v_add_f64 v[110:111], v[159:160], v[110:111]
	v_add_f64 v[40:41], v[40:41], v[56:57]
	;; [unrolled: 1-line block ×5, first 2 shown]
	v_mul_f64 v[40:41], v[100:101], s[8:9]
	v_mul_f64 v[42:43], v[98:99], s[26:27]
	;; [unrolled: 1-line block ×3, first 2 shown]
	v_add_f64 v[32:33], v[36:37], v[32:33]
	v_add_f64 v[34:35], v[38:39], v[34:35]
	v_mul_f64 v[36:37], v[100:101], s[16:17]
	v_mul_f64 v[38:39], v[96:97], s[16:17]
	v_add_f64 v[40:41], v[112:113], v[40:41]
	v_fma_f64 v[50:51], v[96:97], s[34:35], v[42:43]
	v_fma_f64 v[42:43], v[96:97], s[34:35], -v[42:43]
	v_mul_f64 v[112:113], v[74:75], s[20:21]
	v_add_f64 v[28:29], v[32:33], v[28:29]
	v_add_f64 v[30:31], v[34:35], v[30:31]
	v_mul_f64 v[32:33], v[100:101], s[20:21]
	v_mul_f64 v[34:35], v[96:97], s[20:21]
	v_add_f64 v[36:37], v[139:140], v[36:37]
	v_add_f64 v[38:39], v[38:39], -v[133:134]
	v_add_f64 v[50:51], v[4:5], v[50:51]
	v_add_f64 v[42:43], v[4:5], v[42:43]
	v_add_f64 v[112:113], v[112:113], -v[155:156]
	v_mul_f64 v[133:134], v[108:109], s[30:31]
	v_mul_f64 v[139:140], v[120:121], s[30:31]
	v_add_f64 v[20:21], v[28:29], v[20:21]
	v_add_f64 v[22:23], v[30:31], v[22:23]
	v_mul_f64 v[28:29], v[100:101], s[24:25]
	v_mul_f64 v[30:31], v[96:97], s[24:25]
	v_add_f64 v[32:33], v[179:180], v[32:33]
	v_add_f64 v[34:35], v[34:35], -v[173:174]
	v_mul_f64 v[96:97], v[94:95], s[22:23]
	v_add_f64 v[133:134], v[193:194], v[133:134]
	v_add_f64 v[139:140], v[139:140], -v[191:192]
	v_add_f64 v[16:17], v[20:21], v[16:17]
	v_add_f64 v[18:19], v[22:23], v[18:19]
	v_mul_f64 v[20:21], v[100:101], s[30:31]
	v_add_f64 v[28:29], v[205:206], v[28:29]
	v_add_f64 v[30:31], v[30:31], -v[201:202]
	v_add_f64 v[32:33], v[6:7], v[32:33]
	v_add_f64 v[34:35], v[4:5], v[34:35]
	;; [unrolled: 1-line block ×3, first 2 shown]
	v_mul_f64 v[16:17], v[100:101], s[34:35]
	v_add_f64 v[10:11], v[18:19], v[10:11]
	v_fma_f64 v[22:23], v[104:105], s[42:43], v[20:21]
	v_fma_f64 v[20:21], v[104:105], s[28:29], v[20:21]
	v_add_f64 v[28:29], v[6:7], v[28:29]
	v_add_f64 v[30:31], v[4:5], v[30:31]
	v_mul_f64 v[100:101], v[114:115], s[40:41]
	v_fma_f64 v[18:19], v[104:105], s[46:47], v[16:17]
	v_fma_f64 v[16:17], v[104:105], s[26:27], v[16:17]
	v_add_f64 v[58:59], v[6:7], v[22:23]
	v_add_f64 v[60:61], v[6:7], v[20:21]
	;; [unrolled: 1-line block ×4, first 2 shown]
	v_mul_f64 v[38:39], v[78:79], s[8:9]
	v_add_f64 v[36:37], v[4:5], v[54:55]
	v_mul_f64 v[54:55], v[82:83], s[28:29]
	v_mul_f64 v[104:105], v[70:71], s[16:17]
	v_add_f64 v[18:19], v[6:7], v[18:19]
	v_add_f64 v[56:57], v[6:7], v[16:17]
	;; [unrolled: 1-line block ×3, first 2 shown]
	v_mul_f64 v[40:41], v[76:77], s[38:39]
	v_mul_f64 v[76:77], v[76:77], s[40:41]
	v_fma_f64 v[4:5], v[68:69], s[0:1], v[38:39]
	v_fma_f64 v[38:39], v[68:69], s[38:39], v[38:39]
	v_add_f64 v[104:105], v[104:105], -v[116:117]
	v_mul_f64 v[116:117], v[92:93], s[24:25]
	v_fma_f64 v[6:7], v[70:71], s[8:9], v[40:41]
	v_fma_f64 v[40:41], v[70:71], s[8:9], -v[40:41]
	v_add_f64 v[4:5], v[4:5], v[18:19]
	v_add_f64 v[38:39], v[38:39], v[56:57]
	;; [unrolled: 1-line block ×4, first 2 shown]
	v_mul_f64 v[50:51], v[86:87], s[30:31]
	v_add_f64 v[40:41], v[40:41], v[42:43]
	v_mul_f64 v[42:43], v[86:87], s[16:17]
	v_fma_f64 v[18:19], v[72:73], s[42:43], v[50:51]
	v_fma_f64 v[50:51], v[72:73], s[28:29], v[50:51]
	;; [unrolled: 1-line block ×4, first 2 shown]
	v_add_f64 v[4:5], v[18:19], v[4:5]
	v_fma_f64 v[18:19], v[74:75], s[30:31], v[54:55]
	v_add_f64 v[38:39], v[50:51], v[38:39]
	v_fma_f64 v[50:51], v[74:75], s[30:31], -v[54:55]
	v_fma_f64 v[54:55], v[84:85], s[16:17], -v[64:65]
	v_add_f64 v[6:7], v[18:19], v[6:7]
	v_fma_f64 v[18:19], v[80:81], s[10:11], v[62:63]
	v_add_f64 v[40:41], v[50:51], v[40:41]
	v_fma_f64 v[50:51], v[80:81], s[44:45], v[62:63]
	v_fma_f64 v[62:63], v[120:121], s[20:21], -v[100:101]
	v_add_f64 v[4:5], v[18:19], v[4:5]
	v_fma_f64 v[18:19], v[84:85], s[16:17], v[64:65]
	v_add_f64 v[38:39], v[50:51], v[38:39]
	v_fma_f64 v[50:51], v[70:71], s[20:21], v[76:77]
	;; [unrolled: 2-line block ×4, first 2 shown]
	v_add_f64 v[50:51], v[50:51], v[52:53]
	v_add_f64 v[54:55], v[54:55], v[38:39]
	;; [unrolled: 1-line block ×3, first 2 shown]
	v_fma_f64 v[18:19], v[102:103], s[24:25], v[96:97]
	v_add_f64 v[18:19], v[18:19], v[6:7]
	v_fma_f64 v[6:7], v[106:107], s[18:19], v[98:99]
	v_add_f64 v[6:7], v[6:7], v[4:5]
	;; [unrolled: 2-line block ×3, first 2 shown]
	v_mul_f64 v[18:19], v[78:79], s[16:17]
	v_add_f64 v[18:19], v[118:119], v[18:19]
	v_mul_f64 v[118:119], v[84:85], s[24:25]
	v_add_f64 v[16:17], v[18:19], v[16:17]
	v_add_f64 v[18:19], v[104:105], v[36:37]
	v_add_f64 v[118:119], v[118:119], -v[167:168]
	v_mul_f64 v[36:37], v[102:103], s[30:31]
	v_mul_f64 v[104:105], v[122:123], s[34:35]
	v_add_f64 v[16:17], v[110:111], v[16:17]
	v_add_f64 v[18:19], v[112:113], v[18:19]
	v_mul_f64 v[110:111], v[120:121], s[34:35]
	v_add_f64 v[36:37], v[36:37], -v[189:190]
	v_add_f64 v[104:105], v[211:212], v[104:105]
	v_mul_f64 v[112:113], v[74:75], s[34:35]
	v_add_f64 v[16:17], v[116:117], v[16:17]
	v_add_f64 v[18:19], v[118:119], v[18:19]
	v_add_f64 v[110:111], v[110:111], -v[209:210]
	v_mul_f64 v[116:117], v[92:93], s[30:31]
	v_mul_f64 v[118:119], v[84:85], s[30:31]
	v_add_f64 v[112:113], v[112:113], -v[153:154]
	v_add_f64 v[16:17], v[133:134], v[16:17]
	v_add_f64 v[36:37], v[36:37], v[18:19]
	v_mul_f64 v[133:134], v[108:109], s[20:21]
	v_add_f64 v[116:117], v[185:186], v[116:117]
	v_add_f64 v[118:119], v[118:119], -v[177:178]
	v_add_f64 v[18:19], v[104:105], v[16:17]
	v_add_f64 v[16:17], v[110:111], v[36:37]
	v_mul_f64 v[36:37], v[78:79], s[24:25]
	v_mul_f64 v[104:105], v[70:71], s[24:25]
	;; [unrolled: 1-line block ×3, first 2 shown]
	v_add_f64 v[133:134], v[199:200], v[133:134]
	v_add_f64 v[36:37], v[143:144], v[36:37]
	v_add_f64 v[104:105], v[104:105], -v[141:142]
	v_add_f64 v[110:111], v[157:158], v[110:111]
	v_mul_f64 v[141:142], v[78:79], s[30:31]
	v_mul_f64 v[143:144], v[84:85], s[20:21]
	v_add_f64 v[20:21], v[36:37], v[20:21]
	v_add_f64 v[22:23], v[104:105], v[22:23]
	v_mul_f64 v[36:37], v[102:103], s[20:21]
	v_mul_f64 v[104:105], v[122:123], s[8:9]
	v_add_f64 v[126:127], v[126:127], v[141:142]
	v_mul_f64 v[141:142], v[86:87], s[8:9]
	v_add_f64 v[143:144], v[143:144], -v[147:148]
	v_mul_f64 v[147:148], v[102:103], s[34:35]
	v_add_f64 v[20:21], v[110:111], v[20:21]
	v_add_f64 v[22:23], v[112:113], v[22:23]
	v_add_f64 v[36:37], v[36:37], -v[195:196]
	v_mul_f64 v[110:111], v[120:121], s[8:9]
	v_add_f64 v[104:105], v[207:208], v[104:105]
	v_add_f64 v[137:138], v[137:138], v[141:142]
	v_mul_f64 v[141:142], v[70:71], s[30:31]
	v_mul_f64 v[112:113], v[74:75], s[24:25]
	v_add_f64 v[28:29], v[126:127], v[28:29]
	v_add_f64 v[147:148], v[147:148], -v[163:164]
	v_add_f64 v[20:21], v[116:117], v[20:21]
	v_add_f64 v[22:23], v[118:119], v[22:23]
	v_mul_f64 v[116:117], v[92:93], s[8:9]
	v_add_f64 v[110:111], v[110:111], -v[203:204]
	v_mul_f64 v[118:119], v[84:85], s[8:9]
	v_add_f64 v[124:125], v[141:142], -v[124:125]
	;; [unrolled: 2-line block ×3, first 2 shown]
	v_mul_f64 v[145:146], v[108:109], s[34:35]
	v_add_f64 v[28:29], v[137:138], v[28:29]
	v_add_f64 v[20:21], v[133:134], v[20:21]
	;; [unrolled: 1-line block ×4, first 2 shown]
	v_mul_f64 v[133:134], v[102:103], s[16:17]
	v_add_f64 v[118:119], v[118:119], -v[161:162]
	v_add_f64 v[30:31], v[124:125], v[30:31]
	v_add_f64 v[130:131], v[141:142], -v[130:131]
	v_mul_f64 v[141:142], v[92:93], s[20:21]
	v_add_f64 v[145:146], v[169:170], v[145:146]
	v_add_f64 v[22:23], v[104:105], v[20:21]
	;; [unrolled: 1-line block ×3, first 2 shown]
	v_mul_f64 v[36:37], v[78:79], s[34:35]
	v_mul_f64 v[104:105], v[70:71], s[34:35]
	;; [unrolled: 1-line block ×3, first 2 shown]
	v_add_f64 v[133:134], v[133:134], -v[175:176]
	v_add_f64 v[30:31], v[130:131], v[30:31]
	v_add_f64 v[141:142], v[151:152], v[141:142]
	v_mul_f64 v[151:152], v[120:121], s[16:17]
	v_add_f64 v[36:37], v[135:136], v[36:37]
	v_add_f64 v[104:105], v[104:105], -v[128:129]
	v_add_f64 v[110:111], v[149:150], v[110:111]
	v_mul_f64 v[128:129], v[108:109], s[16:17]
	v_mul_f64 v[135:136], v[122:123], s[30:31]
	v_add_f64 v[30:31], v[143:144], v[30:31]
	v_add_f64 v[28:29], v[141:142], v[28:29]
	v_mul_f64 v[149:150], v[122:123], s[16:17]
	v_add_f64 v[151:152], v[151:152], -v[181:182]
	v_add_f64 v[32:33], v[36:37], v[32:33]
	v_mul_f64 v[36:37], v[78:79], s[20:21]
	v_add_f64 v[34:35], v[104:105], v[34:35]
	v_add_f64 v[128:129], v[183:184], v[128:129]
	;; [unrolled: 1-line block ×5, first 2 shown]
	v_fma_f64 v[78:79], v[68:69], s[40:41], v[36:37]
	v_fma_f64 v[36:37], v[68:69], s[18:19], v[36:37]
	v_add_f64 v[34:35], v[112:113], v[34:35]
	v_add_f64 v[32:33], v[116:117], v[32:33]
	v_add_f64 v[60:61], v[78:79], v[60:61]
	v_fma_f64 v[78:79], v[70:71], s[20:21], -v[76:77]
	v_add_f64 v[36:37], v[36:37], v[58:59]
	v_add_f64 v[34:35], v[118:119], v[34:35]
	v_add_f64 v[32:33], v[128:129], v[32:33]
	v_add_f64 v[56:57], v[56:57], v[60:61]
	v_mul_f64 v[60:61], v[82:83], s[10:11]
	v_add_f64 v[48:49], v[78:79], v[48:49]
	v_add_f64 v[36:37], v[42:43], v[36:37]
	;; [unrolled: 1-line block ×3, first 2 shown]
	v_fma_f64 v[78:79], v[74:75], s[16:17], -v[60:61]
	v_fma_f64 v[52:53], v[74:75], s[16:17], v[60:61]
	v_add_f64 v[48:49], v[78:79], v[48:49]
	v_mul_f64 v[78:79], v[92:93], s[34:35]
	v_add_f64 v[50:51], v[52:53], v[50:51]
	v_fma_f64 v[52:53], v[102:103], s[24:25], -v[96:97]
	v_fma_f64 v[82:83], v[80:81], s[46:47], v[78:79]
	v_fma_f64 v[38:39], v[80:81], s[26:27], v[78:79]
	v_add_f64 v[40:41], v[52:53], v[40:41]
	v_add_f64 v[56:57], v[82:83], v[56:57]
	v_mul_f64 v[82:83], v[90:91], s[46:47]
	v_add_f64 v[90:91], v[147:148], v[30:31]
	v_add_f64 v[36:37], v[38:39], v[36:37]
	;; [unrolled: 1-line block ×3, first 2 shown]
	v_fma_f64 v[86:87], v[84:85], s[34:35], -v[82:83]
	v_fma_f64 v[42:43], v[84:85], s[34:35], v[82:83]
	v_add_f64 v[48:49], v[86:87], v[48:49]
	v_add_f64 v[86:87], v[145:146], v[28:29]
	v_mul_f64 v[28:29], v[108:109], s[8:9]
	v_add_f64 v[38:39], v[42:43], v[50:51]
	v_mul_f64 v[42:43], v[122:123], s[24:25]
	v_fma_f64 v[50:51], v[106:107], s[40:41], v[98:99]
	v_fma_f64 v[30:31], v[88:89], s[38:39], v[28:29]
	;; [unrolled: 1-line block ×5, first 2 shown]
	v_add_f64 v[42:43], v[50:51], v[54:55]
	v_add_f64 v[56:57], v[30:31], v[56:57]
	v_mul_f64 v[30:31], v[94:95], s[38:39]
	v_add_f64 v[60:61], v[28:29], v[36:37]
	v_mul_f64 v[28:29], v[114:115], s[22:23]
	v_fma_f64 v[92:93], v[102:103], s[8:9], -v[30:31]
	v_fma_f64 v[30:31], v[102:103], s[8:9], v[30:31]
	v_fma_f64 v[36:37], v[120:121], s[24:25], -v[28:29]
	v_fma_f64 v[64:65], v[120:121], s[24:25], v[28:29]
	v_add_f64 v[28:29], v[139:140], v[34:35]
	v_add_f64 v[34:35], v[149:150], v[86:87]
	;; [unrolled: 1-line block ×8, first 2 shown]
	v_mul_lo_u16 v52, v234, 13
	v_and_b32_e32 v52, 0xffff, v52
	v_add_lshl_u32 v52, v213, v52, 4
	v_add_f64 v[36:37], v[36:37], v[48:49]
	v_add_f64 v[48:49], v[64:65], v[66:67]
	ds_write_b128 v52, v[8:11]
	ds_write_b128 v52, v[16:19] offset:16
	ds_write_b128 v52, v[20:23] offset:32
	;; [unrolled: 1-line block ×12, first 2 shown]
.LBB0_7:
	s_or_b32 exec_lo, exec_lo, s4
	v_add_lshl_u32 v255, v213, v234, 4
	s_waitcnt lgkmcnt(0)
	s_barrier
	buffer_gl0_inv
	v_cmp_gt_u16_e64 s0, 13, v234
	ds_read_b128 v[52:55], v255
	ds_read_b128 v[48:51], v255 offset:624
	ds_read_b128 v[72:75], v255 offset:4160
	;; [unrolled: 1-line block ×8, first 2 shown]
	s_and_saveexec_b32 s1, s0
	s_cbranch_execz .LBB0_9
; %bb.8:
	ds_read_b128 v[12:15], v255 offset:1872
	ds_read_b128 v[24:27], v255 offset:3952
	;; [unrolled: 1-line block ×3, first 2 shown]
.LBB0_9:
	s_or_b32 exec_lo, exec_lo, s1
	v_add_nc_u16 v4, v234, 0x75
	v_add_nc_u16 v5, v234, 39
	v_and_b32_e32 v6, 0xff, v234
	v_add_nc_u16 v7, v234, 0x4e
	s_mov_b32 s4, 0xe8584caa
	v_and_b32_e32 v8, 0xff, v4
	v_and_b32_e32 v9, 0xff, v5
	v_mul_lo_u16 v6, 0x4f, v6
	v_and_b32_e32 v10, 0xff, v7
	s_mov_b32 s5, 0x3febb67a
	v_mul_lo_u16 v8, 0x4f, v8
	v_mul_lo_u16 v9, 0x4f, v9
	v_lshrrev_b16 v122, 10, v6
	v_mul_lo_u16 v6, 0x4f, v10
	v_mov_b32_e32 v10, 5
	v_lshrrev_b16 v8, 10, v8
	v_lshrrev_b16 v123, 10, v9
	v_mul_lo_u16 v9, v122, 13
	v_lshrrev_b16 v124, 10, v6
	s_mov_b32 s9, 0xbfebb67a
	v_mul_lo_u16 v6, v8, 13
	v_mul_lo_u16 v8, v123, 13
	v_sub_nc_u16 v125, v234, v9
	v_mul_lo_u16 v9, v124, 13
	s_mov_b32 s8, s4
	v_sub_nc_u16 v126, v4, v6
	v_sub_nc_u16 v127, v5, v8
	v_lshlrev_b32_sdwa v4, v10, v125 dst_sel:DWORD dst_unused:UNUSED_PAD src0_sel:DWORD src1_sel:BYTE_0
	v_sub_nc_u16 v128, v7, v9
	v_mov_b32_e32 v129, 39
	v_lshlrev_b16 v5, 1, v126
	v_lshlrev_b32_sdwa v6, v10, v127 dst_sel:DWORD dst_unused:UNUSED_PAD src0_sel:DWORD src1_sel:BYTE_0
	s_clause 0x1
	global_load_dwordx4 v[32:35], v4, s[2:3]
	global_load_dwordx4 v[28:31], v4, s[2:3] offset:16
	v_lshlrev_b32_sdwa v4, v10, v128 dst_sel:DWORD dst_unused:UNUSED_PAD src0_sel:DWORD src1_sel:BYTE_0
	v_mul_u32_u24_sdwa v122, v122, v129 dst_sel:DWORD dst_unused:UNUSED_PAD src0_sel:WORD_0 src1_sel:DWORD
	v_and_b32_e32 v5, 0xfe, v5
	s_clause 0x1
	global_load_dwordx4 v[40:43], v6, s[2:3]
	global_load_dwordx4 v[36:39], v6, s[2:3] offset:16
	v_lshlrev_b32_e32 v5, 4, v5
	s_clause 0x3
	global_load_dwordx4 v[20:23], v4, s[2:3]
	global_load_dwordx4 v[16:19], v4, s[2:3] offset:16
	global_load_dwordx4 v[8:11], v5, s[2:3]
	global_load_dwordx4 v[4:7], v5, s[2:3] offset:16
	s_waitcnt vmcnt(7) lgkmcnt(4)
	v_mul_f64 v[84:85], v[82:83], v[34:35]
	v_mul_f64 v[86:87], v[80:81], v[34:35]
	s_waitcnt vmcnt(6)
	v_mul_f64 v[88:89], v[74:75], v[30:31]
	v_mul_f64 v[90:91], v[72:73], v[30:31]
	s_waitcnt vmcnt(5) lgkmcnt(2)
	v_mul_f64 v[92:93], v[78:79], v[42:43]
	v_mul_f64 v[94:95], v[76:77], v[42:43]
	s_waitcnt vmcnt(4)
	v_mul_f64 v[96:97], v[62:63], v[38:39]
	v_mul_f64 v[98:99], v[60:61], v[38:39]
	s_waitcnt vmcnt(3) lgkmcnt(1)
	v_mul_f64 v[100:101], v[66:67], v[22:23]
	s_waitcnt vmcnt(2) lgkmcnt(0)
	v_mul_f64 v[102:103], v[70:71], v[18:19]
	v_mul_f64 v[104:105], v[64:65], v[22:23]
	;; [unrolled: 1-line block ×3, first 2 shown]
	s_waitcnt vmcnt(1)
	v_mul_f64 v[108:109], v[26:27], v[10:11]
	s_waitcnt vmcnt(0)
	v_mul_f64 v[110:111], v[46:47], v[6:7]
	v_mul_f64 v[112:113], v[24:25], v[10:11]
	;; [unrolled: 1-line block ×3, first 2 shown]
	v_fma_f64 v[80:81], v[80:81], v[32:33], -v[84:85]
	v_fma_f64 v[82:83], v[82:83], v[32:33], v[86:87]
	v_fma_f64 v[72:73], v[72:73], v[28:29], -v[88:89]
	v_fma_f64 v[74:75], v[74:75], v[28:29], v[90:91]
	;; [unrolled: 2-line block ×4, first 2 shown]
	v_fma_f64 v[64:65], v[64:65], v[20:21], -v[100:101]
	v_fma_f64 v[68:69], v[68:69], v[16:17], -v[102:103]
	v_fma_f64 v[66:67], v[66:67], v[20:21], v[104:105]
	v_fma_f64 v[70:71], v[70:71], v[16:17], v[106:107]
	v_fma_f64 v[60:61], v[24:25], v[8:9], -v[108:109]
	v_fma_f64 v[24:25], v[44:45], v[4:5], -v[110:111]
	v_fma_f64 v[44:45], v[26:27], v[8:9], v[112:113]
	v_fma_f64 v[26:27], v[46:47], v[4:5], v[114:115]
	v_add_f64 v[100:101], v[52:53], v[80:81]
	v_add_f64 v[46:47], v[80:81], v[72:73]
	;; [unrolled: 1-line block ×3, first 2 shown]
	v_add_f64 v[102:103], v[82:83], -v[74:75]
	v_add_f64 v[82:83], v[54:55], v[82:83]
	v_add_f64 v[88:89], v[76:77], v[84:85]
	;; [unrolled: 1-line block ×4, first 2 shown]
	v_add_f64 v[80:81], v[80:81], -v[72:73]
	v_add_f64 v[92:93], v[64:65], v[68:69]
	v_add_f64 v[108:109], v[56:57], v[64:65]
	;; [unrolled: 1-line block ×7, first 2 shown]
	v_add_f64 v[78:79], v[78:79], -v[62:63]
	v_add_f64 v[76:77], v[76:77], -v[84:85]
	;; [unrolled: 1-line block ×6, first 2 shown]
	v_fma_f64 v[112:113], v[46:47], -0.5, v[52:53]
	v_fma_f64 v[86:87], v[86:87], -0.5, v[54:55]
	v_add_f64 v[46:47], v[100:101], v[72:73]
	v_fma_f64 v[88:89], v[88:89], -0.5, v[48:49]
	v_fma_f64 v[90:91], v[90:91], -0.5, v[50:51]
	v_add_f64 v[48:49], v[82:83], v[74:75]
	v_add_f64 v[52:53], v[106:107], v[62:63]
	v_fma_f64 v[92:93], v[92:93], -0.5, v[56:57]
	v_add_f64 v[54:55], v[108:109], v[68:69]
	v_fma_f64 v[58:59], v[94:95], -0.5, v[58:59]
	v_add_f64 v[50:51], v[104:105], v[84:85]
	v_fma_f64 v[96:97], v[96:97], -0.5, v[12:13]
	v_add_f64 v[56:57], v[110:111], v[70:71]
	v_fma_f64 v[98:99], v[98:99], -0.5, v[14:15]
	v_mul_u32_u24_sdwa v70, v124, v129 dst_sel:DWORD dst_unused:UNUSED_PAD src0_sel:WORD_0 src1_sel:DWORD
	v_fma_f64 v[62:63], v[102:103], s[4:5], v[112:113]
	v_fma_f64 v[64:65], v[80:81], s[8:9], v[86:87]
	;; [unrolled: 1-line block ×16, first 2 shown]
	s_load_dwordx4 s[4:7], s[6:7], 0x0
	v_mul_u32_u24_sdwa v58, v123, v129 dst_sel:DWORD dst_unused:UNUSED_PAD src0_sel:WORD_0 src1_sel:DWORD
	v_add_nc_u32_sdwa v59, v122, v125 dst_sel:DWORD dst_unused:UNUSED_PAD src0_sel:DWORD src1_sel:BYTE_0
	s_waitcnt lgkmcnt(0)
	s_barrier
	buffer_gl0_inv
	v_add_nc_u32_sdwa v58, v58, v127 dst_sel:DWORD dst_unused:UNUSED_PAD src0_sel:DWORD src1_sel:BYTE_0
	v_add_lshl_u32 v253, v213, v59, 4
	v_add_nc_u32_sdwa v59, v70, v128 dst_sel:DWORD dst_unused:UNUSED_PAD src0_sel:DWORD src1_sel:BYTE_0
	ds_write_b128 v253, v[46:49]
	ds_write_b128 v253, v[62:65] offset:208
	ds_write_b128 v253, v[66:69] offset:416
	v_add_lshl_u32 v58, v213, v58, 4
	v_add_lshl_u32 v47, v213, v59, 4
	v_and_b32_e32 v46, 0xff, v126
	ds_write_b128 v58, v[50:53]
	ds_write_b128 v58, v[80:83] offset:208
	buffer_store_dword v46, off, s[48:51], 0 offset:8 ; 4-byte Folded Spill
	buffer_store_dword v58, off, s[48:51], 0 offset:16 ; 4-byte Folded Spill
	ds_write_b128 v58, v[84:87] offset:416
	ds_write_b128 v47, v[54:57]
	ds_write_b128 v47, v[88:91] offset:208
	buffer_store_dword v47, off, s[48:51], 0 offset:12 ; 4-byte Folded Spill
	ds_write_b128 v47, v[92:95] offset:416
	s_and_saveexec_b32 s1, s0
	s_cbranch_execz .LBB0_11
; %bb.10:
	v_add_f64 v[12:13], v[12:13], v[60:61]
	v_add_f64 v[14:15], v[14:15], v[44:45]
	;; [unrolled: 1-line block ×3, first 2 shown]
	buffer_load_dword v24, off, s[48:51], 0 offset:8 ; 4-byte Folded Reload
	v_add_f64 v[14:15], v[14:15], v[26:27]
	s_waitcnt vmcnt(0)
	v_add_lshl_u32 v24, v213, v24, 4
	ds_write_b128 v24, v[76:79] offset:5824
	ds_write_b128 v24, v[12:15] offset:5616
	;; [unrolled: 1-line block ×3, first 2 shown]
.LBB0_11:
	s_or_b32 exec_lo, exec_lo, s1
	v_mad_u64_u32 v[56:57], null, 0x90, v234, s[2:3]
	s_waitcnt lgkmcnt(0)
	s_waitcnt_vscnt null, 0x0
	s_barrier
	buffer_gl0_inv
	s_mov_b32 s2, 0x134454ff
	s_mov_b32 s3, 0x3fee6f0e
	;; [unrolled: 1-line block ×3, first 2 shown]
	s_clause 0x8
	global_load_dwordx4 v[24:27], v[56:57], off offset:448
	global_load_dwordx4 v[48:51], v[56:57], off offset:480
	;; [unrolled: 1-line block ×9, first 2 shown]
	ds_read_b128 v[80:83], v255 offset:1872
	ds_read_b128 v[84:87], v255 offset:3120
	;; [unrolled: 1-line block ×9, first 2 shown]
	s_mov_b32 s16, s2
	s_mov_b32 s8, 0x4755a5e
	;; [unrolled: 1-line block ×9, first 2 shown]
	v_lshl_add_u32 v254, v234, 4, v235
	s_waitcnt vmcnt(8) lgkmcnt(8)
	v_mul_f64 v[116:117], v[82:83], v[26:27]
	v_mul_f64 v[118:119], v[80:81], v[26:27]
	s_waitcnt vmcnt(7) lgkmcnt(7)
	v_mul_f64 v[120:121], v[86:87], v[50:51]
	v_mul_f64 v[122:123], v[84:85], v[50:51]
	;; [unrolled: 3-line block ×8, first 2 shown]
	s_waitcnt vmcnt(0) lgkmcnt(0)
	v_mul_f64 v[149:150], v[112:113], v[58:59]
	v_fma_f64 v[116:117], v[80:81], v[24:25], -v[116:117]
	v_fma_f64 v[118:119], v[82:83], v[24:25], v[118:119]
	v_fma_f64 v[84:85], v[84:85], v[48:49], -v[120:121]
	v_fma_f64 v[86:87], v[86:87], v[48:49], v[122:123]
	;; [unrolled: 2-line block ×3, first 2 shown]
	v_fma_f64 v[94:95], v[94:95], v[52:53], v[128:129]
	v_fma_f64 v[92:93], v[92:93], v[52:53], -v[130:131]
	v_mul_f64 v[120:121], v[114:115], v[58:59]
	v_fma_f64 v[96:97], v[96:97], v[12:13], -v[133:134]
	v_fma_f64 v[98:99], v[98:99], v[12:13], v[135:136]
	v_fma_f64 v[100:101], v[100:101], v[68:69], -v[137:138]
	v_fma_f64 v[102:103], v[102:103], v[68:69], v[139:140]
	;; [unrolled: 2-line block ×4, first 2 shown]
	v_fma_f64 v[114:115], v[114:115], v[56:57], v[149:150]
	ds_read_b128 v[80:83], v255
	buffer_store_dword v234, off, s[48:51], 0 offset:20 ; 4-byte Folded Spill
	buffer_store_dword v235, off, s[48:51], 0 offset:4 ; 4-byte Folded Spill
	v_add_f64 v[163:164], v[116:117], -v[84:85]
	v_add_f64 v[167:168], v[84:85], -v[116:117]
	v_add_f64 v[122:123], v[84:85], v[88:89]
	v_add_f64 v[124:125], v[86:87], v[90:91]
	;; [unrolled: 1-line block ×4, first 2 shown]
	v_fma_f64 v[112:113], v[112:113], v[56:57], -v[120:121]
	v_add_f64 v[137:138], v[118:119], -v[94:95]
	v_add_f64 v[139:140], v[86:87], -v[90:91]
	;; [unrolled: 1-line block ×6, first 2 shown]
	v_add_f64 v[130:131], v[104:105], v[108:109]
	v_add_f64 v[157:158], v[106:107], v[110:111]
	;; [unrolled: 1-line block ×3, first 2 shown]
	v_add_f64 v[171:172], v[118:119], -v[86:87]
	v_add_f64 v[173:174], v[94:95], -v[90:91]
	;; [unrolled: 1-line block ×4, first 2 shown]
	s_waitcnt lgkmcnt(0)
	v_add_f64 v[120:121], v[80:81], v[100:101]
	v_add_f64 v[133:134], v[102:103], -v[114:115]
	v_add_f64 v[135:136], v[106:107], -v[110:111]
	;; [unrolled: 1-line block ×3, first 2 shown]
	v_fma_f64 v[122:123], v[122:123], -0.5, v[96:97]
	v_fma_f64 v[124:125], v[124:125], -0.5, v[98:99]
	;; [unrolled: 1-line block ×4, first 2 shown]
	v_add_f64 v[149:150], v[100:101], v[112:113]
	v_add_f64 v[147:148], v[112:113], -v[108:109]
	v_add_f64 v[151:152], v[104:105], -v[100:101]
	;; [unrolled: 1-line block ×3, first 2 shown]
	v_add_f64 v[155:156], v[82:83], v[102:103]
	v_add_f64 v[100:101], v[100:101], -v[112:113]
	v_add_f64 v[159:160], v[104:105], -v[108:109]
	v_add_f64 v[96:97], v[96:97], v[116:117]
	v_add_f64 v[98:99], v[98:99], v[118:119]
	v_fma_f64 v[116:117], v[130:131], -0.5, v[80:81]
	v_fma_f64 v[118:119], v[157:158], -0.5, v[82:83]
	;; [unrolled: 1-line block ×3, first 2 shown]
	v_add_f64 v[130:131], v[163:164], v[165:166]
	v_add_f64 v[157:158], v[171:172], v[173:174]
	v_add_f64 v[161:162], v[175:176], v[177:178]
	v_add_f64 v[187:188], v[102:103], -v[106:107]
	v_add_f64 v[189:190], v[114:115], -v[110:111]
	;; [unrolled: 1-line block ×3, first 2 shown]
	v_fma_f64 v[185:186], v[137:138], s[16:17], v[122:123]
	v_fma_f64 v[179:180], v[141:142], s[16:17], v[124:125]
	;; [unrolled: 1-line block ×8, first 2 shown]
	v_fma_f64 v[80:81], v[149:150], -0.5, v[80:81]
	v_add_f64 v[149:150], v[167:168], v[169:170]
	v_add_f64 v[191:192], v[110:111], -v[114:115]
	v_add_f64 v[104:105], v[120:121], v[104:105]
	v_add_f64 v[120:121], v[145:146], v[147:148]
	;; [unrolled: 1-line block ×5, first 2 shown]
	v_fma_f64 v[96:97], v[133:134], s[2:3], v[116:117]
	v_fma_f64 v[98:99], v[133:134], s[16:17], v[116:117]
	;; [unrolled: 1-line block ×10, first 2 shown]
	v_add_f64 v[137:138], v[151:152], v[153:154]
	v_fma_f64 v[116:117], v[135:136], s[16:17], v[80:81]
	v_fma_f64 v[80:81], v[135:136], s[2:3], v[80:81]
	;; [unrolled: 1-line block ×6, first 2 shown]
	v_add_f64 v[102:103], v[102:103], v[191:192]
	v_add_f64 v[104:105], v[104:105], v[108:109]
	v_add_f64 v[106:107], v[106:107], v[110:111]
	v_add_f64 v[84:85], v[84:85], v[88:89]
	v_add_f64 v[86:87], v[86:87], v[90:91]
	v_fma_f64 v[88:89], v[135:136], s[8:9], v[96:97]
	v_fma_f64 v[90:91], v[135:136], s[18:19], v[98:99]
	;; [unrolled: 1-line block ×10, first 2 shown]
	v_add_f64 v[130:131], v[187:188], v[189:190]
	v_fma_f64 v[96:97], v[133:134], s[8:9], v[116:117]
	v_fma_f64 v[80:81], v[133:134], s[18:19], v[80:81]
	;; [unrolled: 1-line block ×6, first 2 shown]
	v_add_f64 v[104:105], v[104:105], v[112:113]
	v_add_f64 v[106:107], v[106:107], v[114:115]
	;; [unrolled: 1-line block ×4, first 2 shown]
	v_fma_f64 v[88:89], v[120:121], s[10:11], v[88:89]
	v_fma_f64 v[90:91], v[120:121], s[10:11], v[90:91]
	v_mul_f64 v[133:134], v[151:152], s[20:21]
	v_mul_f64 v[100:101], v[143:144], s[8:9]
	;; [unrolled: 1-line block ×8, first 2 shown]
	v_fma_f64 v[92:93], v[137:138], s[10:11], v[96:97]
	v_fma_f64 v[94:95], v[137:138], s[10:11], v[80:81]
	;; [unrolled: 1-line block ×6, first 2 shown]
	v_add_f64 v[80:81], v[104:105], v[84:85]
	v_add_f64 v[82:83], v[106:107], v[86:87]
	v_add_f64 v[102:103], v[106:107], -v[86:87]
	v_fma_f64 v[124:125], v[124:125], s[8:9], -v[133:134]
	v_fma_f64 v[96:97], v[122:123], s[20:21], v[100:101]
	v_fma_f64 v[122:123], v[128:129], s[10:11], v[116:117]
	v_fma_f64 v[126:127], v[126:127], s[2:3], -v[118:119]
	v_fma_f64 v[128:129], v[143:144], s[20:21], v[135:136]
	v_fma_f64 v[133:134], v[145:146], s[10:11], v[139:140]
	v_fma_f64 v[135:136], v[147:148], s[16:17], -v[141:142]
	v_fma_f64 v[139:140], v[151:152], s[18:19], -v[149:150]
	v_add_f64 v[100:101], v[104:105], -v[84:85]
	v_add_f64 v[104:105], v[90:91], v[124:125]
	v_add_f64 v[116:117], v[88:89], v[96:97]
	;; [unrolled: 1-line block ×8, first 2 shown]
	v_add_f64 v[96:97], v[88:89], -v[96:97]
	v_add_f64 v[92:93], v[92:93], -v[122:123]
	v_add_f64 v[88:89], v[94:95], -v[126:127]
	v_add_f64 v[84:85], v[90:91], -v[124:125]
	v_add_f64 v[98:99], v[98:99], -v[128:129]
	v_add_f64 v[94:95], v[130:131], -v[133:134]
	v_add_f64 v[90:91], v[137:138], -v[135:136]
	v_add_f64 v[86:87], v[120:121], -v[139:140]
	ds_write_b128 v254, v[80:83]
	ds_write_b128 v254, v[100:103] offset:3120
	ds_write_b128 v254, v[116:119] offset:624
	;; [unrolled: 1-line block ×9, first 2 shown]
	s_waitcnt lgkmcnt(0)
	s_waitcnt_vscnt null, 0x0
	s_barrier
	buffer_gl0_inv
	s_and_saveexec_b32 s2, vcc_lo
	s_cbranch_execz .LBB0_13
; %bb.12:
	buffer_load_dword v120, off, s[48:51], 0 ; 4-byte Folded Reload
	s_waitcnt vmcnt(0)
	v_add_co_u32 v155, s1, s14, v120
	v_add_co_ci_u32_e64 v156, null, s15, 0, s1
	v_add_co_u32 v120, s1, 0x1800, v155
	v_add_co_ci_u32_e64 v121, s1, 0, v156, s1
	v_add_co_u32 v137, s1, 0x1860, v155
	v_add_co_ci_u32_e64 v138, s1, 0, v156, s1
	global_load_dwordx4 v[120:123], v[120:121], off offset:96
	v_add_co_u32 v153, s1, 0x2000, v155
	s_clause 0x3
	global_load_dwordx4 v[124:127], v[137:138], off offset:480
	global_load_dwordx4 v[128:131], v[137:138], off offset:960
	;; [unrolled: 1-line block ×4, first 2 shown]
	v_add_co_ci_u32_e64 v154, s1, 0, v156, s1
	s_clause 0x2
	global_load_dwordx4 v[141:144], v[153:154], off offset:448
	global_load_dwordx4 v[145:148], v[153:154], off offset:928
	;; [unrolled: 1-line block ×3, first 2 shown]
	v_add_co_u32 v169, s1, 0x2800, v155
	v_add_co_ci_u32_e64 v170, s1, 0, v156, s1
	s_clause 0x4
	global_load_dwordx4 v[153:156], v[153:154], off offset:1888
	global_load_dwordx4 v[157:160], v[169:170], off offset:320
	;; [unrolled: 1-line block ×5, first 2 shown]
	ds_read_b128 v[173:176], v254
	ds_read_b128 v[177:180], v254 offset:480
	ds_read_b128 v[181:184], v254 offset:960
	s_waitcnt vmcnt(12) lgkmcnt(2)
	v_mul_f64 v[185:186], v[175:176], v[122:123]
	v_mul_f64 v[122:123], v[173:174], v[122:123]
	s_waitcnt vmcnt(11) lgkmcnt(1)
	v_mul_f64 v[187:188], v[179:180], v[126:127]
	v_mul_f64 v[126:127], v[177:178], v[126:127]
	v_fma_f64 v[173:174], v[173:174], v[120:121], -v[185:186]
	v_fma_f64 v[175:176], v[175:176], v[120:121], v[122:123]
	ds_read_b128 v[120:123], v254 offset:1440
	s_waitcnt vmcnt(10) lgkmcnt(1)
	v_mul_f64 v[185:186], v[183:184], v[130:131]
	v_mul_f64 v[130:131], v[181:182], v[130:131]
	v_fma_f64 v[177:178], v[177:178], v[124:125], -v[187:188]
	v_fma_f64 v[179:180], v[179:180], v[124:125], v[126:127]
	ds_read_b128 v[124:127], v254 offset:1920
	;; [unrolled: 6-line block ×10, first 2 shown]
	s_waitcnt vmcnt(1) lgkmcnt(1)
	v_mul_f64 v[187:188], v[155:156], v[167:168]
	v_mul_f64 v[167:168], v[153:154], v[167:168]
	v_fma_f64 v[149:150], v[149:150], v[161:162], -v[185:186]
	v_fma_f64 v[151:152], v[151:152], v[161:162], v[163:164]
	s_waitcnt vmcnt(0) lgkmcnt(0)
	v_mul_f64 v[161:162], v[159:160], v[171:172]
	v_mul_f64 v[163:164], v[157:158], v[171:172]
	v_fma_f64 v[153:154], v[153:154], v[165:166], -v[187:188]
	v_fma_f64 v[155:156], v[155:156], v[165:166], v[167:168]
	v_fma_f64 v[157:158], v[157:158], v[169:170], -v[161:162]
	v_fma_f64 v[159:160], v[159:160], v[169:170], v[163:164]
	ds_write_b128 v254, v[173:176]
	ds_write_b128 v254, v[177:180] offset:480
	ds_write_b128 v254, v[181:184] offset:960
	;; [unrolled: 1-line block ×12, first 2 shown]
.LBB0_13:
	s_or_b32 exec_lo, exec_lo, s2
	s_waitcnt lgkmcnt(0)
	s_barrier
	buffer_gl0_inv
	s_and_saveexec_b32 s1, vcc_lo
	s_cbranch_execz .LBB0_15
; %bb.14:
	ds_read_b128 v[80:83], v254
	ds_read_b128 v[116:119], v254 offset:480
	ds_read_b128 v[112:115], v254 offset:960
	;; [unrolled: 1-line block ×12, first 2 shown]
.LBB0_15:
	s_or_b32 exec_lo, exec_lo, s1
	s_waitcnt lgkmcnt(0)
	v_add_f64 v[151:152], v[118:119], -v[2:3]
	s_mov_b32 s2, 0x42a4c3d2
	s_mov_b32 s3, 0xbfea55e2
	v_add_f64 v[149:150], v[116:117], v[0:1]
	v_add_f64 v[135:136], v[114:115], -v[74:75]
	v_add_f64 v[185:186], v[118:119], v[2:3]
	s_mov_b32 s10, 0x1ea71119
	s_mov_b32 s8, 0x2ef20147
	;; [unrolled: 1-line block ×4, first 2 shown]
	v_add_f64 v[133:134], v[112:113], v[72:73]
	v_add_f64 v[187:188], v[116:117], -v[0:1]
	s_mov_b32 s16, 0xb2365da1
	s_mov_b32 s17, 0xbfd6b1d8
	v_add_f64 v[137:138], v[114:115], v[74:75]
	v_add_f64 v[143:144], v[112:113], -v[72:73]
	v_add_f64 v[141:142], v[110:111], -v[78:79]
	s_mov_b32 s24, 0x4bc48dbf
	s_mov_b32 s25, 0xbfcea1e5
	v_add_f64 v[139:140], v[108:109], v[76:77]
	v_add_f64 v[147:148], v[110:111], v[78:79]
	s_mov_b32 s18, 0x93053d00
	v_mul_f64 v[181:182], v[151:152], s[2:3]
	s_mov_b32 s19, 0xbfef11f4
	v_add_f64 v[159:160], v[108:109], -v[76:77]
	v_add_f64 v[157:158], v[106:107], -v[86:87]
	v_mul_f64 v[177:178], v[135:136], s[8:9]
	v_mul_f64 v[193:194], v[185:186], s[10:11]
	s_mov_b32 s28, 0x24c2f84
	s_mov_b32 s29, 0x3fe5384d
	v_add_f64 v[145:146], v[104:105], v[84:85]
	v_add_f64 v[155:156], v[106:107], v[86:87]
	s_mov_b32 s20, 0xd0032e0c
	s_mov_b32 s21, 0xbfe7f3cc
	v_add_f64 v[169:170], v[104:105], -v[84:85]
	v_add_f64 v[175:176], v[102:103], -v[90:91]
	s_mov_b32 s34, 0x66966769
	s_mov_b32 s35, 0xbfefc445
	v_mul_f64 v[179:180], v[141:142], s[24:25]
	s_mov_b32 s31, 0x3fefc445
	s_mov_b32 s30, s34
	v_add_f64 v[153:154], v[100:101], v[88:89]
	v_mul_f64 v[189:190], v[147:148], s[18:19]
	v_add_f64 v[165:166], v[102:103], v[90:91]
	v_fma_f64 v[120:121], v[149:150], s[10:11], -v[181:182]
	s_mov_b32 s22, 0xebaa3ed8
	s_mov_b32 s23, 0x3fbedb7d
	v_mul_f64 v[191:192], v[157:158], s[28:29]
	v_fma_f64 v[122:123], v[133:134], s[16:17], -v[177:178]
	v_fma_f64 v[124:125], v[187:188], s[2:3], v[193:194]
	v_add_f64 v[183:184], v[100:101], -v[88:89]
	v_add_f64 v[163:164], v[98:99], -v[94:95]
	s_mov_b32 s45, 0x3fddbe06
	v_mul_f64 v[199:200], v[155:156], s[20:21]
	s_mov_b32 s44, 0x4267c47c
	v_add_f64 v[161:162], v[96:97], v[92:93]
	v_add_f64 v[167:168], v[98:99], v[94:95]
	v_mul_f64 v[197:198], v[175:176], s[30:31]
	s_mov_b32 s26, 0xe00740e9
	s_mov_b32 s27, 0x3fec55a7
	v_add_f64 v[171:172], v[96:97], -v[92:93]
	v_mul_f64 v[245:246], v[151:152], s[34:35]
	v_mul_f64 v[223:224], v[135:136], s[24:25]
	v_mul_f64 v[247:248], v[185:186], s[22:23]
	v_mul_f64 v[229:230], v[137:138], s[18:19]
	v_mul_f64 v[221:222], v[165:166], s[22:23]
	v_add_f64 v[120:121], v[80:81], v[120:121]
	s_mov_b32 s43, 0x3fedeba7
	s_mov_b32 s42, s8
	v_mul_f64 v[237:238], v[147:148], s[16:17]
	v_mul_f64 v[225:226], v[141:142], s[42:43]
	;; [unrolled: 1-line block ×7, first 2 shown]
	s_mov_b32 s39, 0xbfe5384d
	s_mov_b32 s38, s28
	v_mul_f64 v[227:228], v[167:168], s[26:27]
	v_mul_f64 v[235:236], v[163:164], s[38:39]
	;; [unrolled: 1-line block ×6, first 2 shown]
	v_fma_f64 v[126:127], v[133:134], s[18:19], -v[223:224]
	v_mul_f64 v[205:206], v[137:138], s[20:21]
	v_fma_f64 v[128:129], v[143:144], s[24:25], v[229:230]
	v_mul_f64 v[209:210], v[147:148], s[26:27]
	v_add_f64 v[120:121], v[122:123], v[120:121]
	v_add_f64 v[122:123], v[82:83], v[124:125]
	v_mul_f64 v[124:125], v[137:138], s[16:17]
	v_mul_f64 v[211:212], v[155:156], s[22:23]
	s_mov_b32 s37, 0x3fcea1e5
	s_mov_b32 s36, s24
	v_mul_f64 v[217:218], v[165:166], s[18:19]
	s_mov_b32 s41, 0x3fea55e2
	s_mov_b32 s40, s2
	buffer_store_dword v124, off, s[48:51], 0 offset:28 ; 4-byte Folded Spill
	buffer_store_dword v125, off, s[48:51], 0 offset:32 ; 4-byte Folded Spill
	v_fma_f64 v[130:131], v[133:134], s[20:21], -v[195:196]
	v_fma_f64 v[201:202], v[143:144], s[28:29], v[205:206]
	s_waitcnt_vscnt null, 0x0
	s_barrier
	buffer_gl0_inv
	v_fma_f64 v[124:125], v[143:144], s[8:9], v[124:125]
	v_add_f64 v[122:123], v[124:125], v[122:123]
	v_fma_f64 v[124:125], v[139:140], s[18:19], -v[179:180]
	v_add_f64 v[120:121], v[124:125], v[120:121]
	v_fma_f64 v[124:125], v[159:160], s[24:25], v[189:190]
	v_add_f64 v[122:123], v[124:125], v[122:123]
	v_fma_f64 v[124:125], v[145:146], s[20:21], -v[191:192]
	v_add_f64 v[120:121], v[124:125], v[120:121]
	;; [unrolled: 4-line block ×5, first 2 shown]
	v_add_f64 v[124:125], v[126:127], v[124:125]
	v_fma_f64 v[126:127], v[187:188], s[34:35], v[247:248]
	v_add_f64 v[126:127], v[82:83], v[126:127]
	v_add_f64 v[126:127], v[128:129], v[126:127]
	v_fma_f64 v[128:129], v[139:140], s[16:17], -v[225:226]
	v_add_f64 v[124:125], v[128:129], v[124:125]
	v_fma_f64 v[128:129], v[159:160], s[42:43], v[237:238]
	v_add_f64 v[126:127], v[128:129], v[126:127]
	v_fma_f64 v[128:129], v[145:146], s[26:27], -v[231:232]
	v_add_f64 v[124:125], v[128:129], v[124:125]
	v_fma_f64 v[128:129], v[169:170], s[44:45], v[239:240]
	;; [unrolled: 4-line block ×4, first 2 shown]
	v_add_f64 v[126:127], v[128:129], v[126:127]
	v_fma_f64 v[128:129], v[149:150], s[16:17], -v[249:250]
	v_add_f64 v[128:129], v[80:81], v[128:129]
	v_add_f64 v[128:129], v[130:131], v[128:129]
	v_fma_f64 v[130:131], v[187:188], s[8:9], v[251:252]
	v_add_f64 v[130:131], v[82:83], v[130:131]
	v_add_f64 v[130:131], v[201:202], v[130:131]
	v_mul_f64 v[201:202], v[141:142], s[44:45]
	v_fma_f64 v[203:204], v[139:140], s[26:27], -v[201:202]
	v_add_f64 v[128:129], v[203:204], v[128:129]
	v_fma_f64 v[203:204], v[159:160], s[44:45], v[209:210]
	v_add_f64 v[130:131], v[203:204], v[130:131]
	v_mul_f64 v[203:204], v[157:158], s[34:35]
	v_fma_f64 v[207:208], v[145:146], s[22:23], -v[203:204]
	v_add_f64 v[128:129], v[207:208], v[128:129]
	v_fma_f64 v[207:208], v[169:170], s[34:35], v[211:212]
	v_add_f64 v[130:131], v[207:208], v[130:131]
	v_mul_f64 v[207:208], v[175:176], s[36:37]
	v_fma_f64 v[213:214], v[153:154], s[18:19], -v[207:208]
	v_add_f64 v[128:129], v[213:214], v[128:129]
	v_fma_f64 v[213:214], v[183:184], s[36:37], v[217:218]
	v_add_f64 v[130:131], v[213:214], v[130:131]
	v_mul_f64 v[213:214], v[163:164], s[40:41]
	v_fma_f64 v[215:216], v[161:162], s[10:11], -v[213:214]
	v_add_f64 v[128:129], v[215:216], v[128:129]
	v_mul_f64 v[215:216], v[167:168], s[10:11]
	v_fma_f64 v[173:174], v[171:172], s[40:41], v[215:216]
	v_add_f64 v[130:131], v[173:174], v[130:131]
	s_and_saveexec_b32 s1, vcc_lo
	s_cbranch_execz .LBB0_17
; %bb.16:
	v_add_f64 v[116:117], v[80:81], v[116:117]
	v_add_f64 v[118:119], v[82:83], v[118:119]
	;; [unrolled: 1-line block ×4, first 2 shown]
	v_mul_f64 v[116:117], v[151:152], s[38:39]
	v_add_f64 v[108:109], v[112:113], v[108:109]
	v_add_f64 v[110:111], v[114:115], v[110:111]
	v_mul_f64 v[114:115], v[151:152], s[24:25]
	v_fma_f64 v[173:174], v[149:150], s[20:21], -v[116:117]
	v_fma_f64 v[116:117], v[149:150], s[20:21], v[116:117]
	v_add_f64 v[104:105], v[108:109], v[104:105]
	v_add_f64 v[106:107], v[110:111], v[106:107]
	;; [unrolled: 1-line block ×5, first 2 shown]
	v_mul_f64 v[104:105], v[187:188], s[38:39]
	v_add_f64 v[96:97], v[100:101], v[96:97]
	v_add_f64 v[98:99], v[102:103], v[98:99]
	v_mul_f64 v[100:101], v[175:176], s[44:45]
	v_mul_f64 v[102:103], v[187:188], s[24:25]
	v_fma_f64 v[110:111], v[185:186], s[20:21], v[104:105]
	v_fma_f64 v[104:105], v[185:186], s[20:21], -v[104:105]
	v_add_f64 v[92:93], v[96:97], v[92:93]
	v_add_f64 v[94:95], v[98:99], v[94:95]
	v_mul_f64 v[96:97], v[169:170], s[44:45]
	v_mul_f64 v[98:99], v[171:172], s[44:45]
	v_fma_f64 v[108:109], v[185:186], s[18:19], v[102:103]
	v_fma_f64 v[102:103], v[185:186], s[18:19], -v[102:103]
	v_add_f64 v[110:111], v[82:83], v[110:111]
	v_add_f64 v[104:105], v[82:83], v[104:105]
	;; [unrolled: 1-line block ×4, first 2 shown]
	v_mul_f64 v[92:93], v[159:160], s[44:45]
	v_mul_f64 v[94:95], v[183:184], s[44:45]
	v_add_f64 v[108:109], v[82:83], v[108:109]
	v_add_f64 v[102:103], v[82:83], v[102:103]
	v_add_f64 v[96:97], v[239:240], -v[96:97]
	v_add_f64 v[84:85], v[88:89], v[84:85]
	v_add_f64 v[86:87], v[90:91], v[86:87]
	v_mul_f64 v[88:89], v[143:144], s[44:45]
	v_mul_f64 v[90:91], v[135:136], s[44:45]
	s_mov_b32 s45, 0xbfddbe06
	v_add_f64 v[92:93], v[209:210], -v[92:93]
	v_mul_f64 v[118:119], v[151:152], s[44:45]
	v_fma_f64 v[151:152], v[149:150], s[18:19], -v[114:115]
	v_fma_f64 v[114:115], v[149:150], s[18:19], v[114:115]
	v_mul_f64 v[106:107], v[187:188], s[44:45]
	v_mul_f64 v[209:210], v[133:134], s[20:21]
	v_add_f64 v[76:77], v[84:85], v[76:77]
	v_add_f64 v[78:79], v[86:87], v[78:79]
	v_mul_f64 v[84:85], v[149:150], s[22:23]
	v_mul_f64 v[86:87], v[149:150], s[10:11]
	v_add_f64 v[114:115], v[80:81], v[114:115]
	v_fma_f64 v[112:113], v[185:186], s[26:27], -v[106:107]
	v_fma_f64 v[106:107], v[185:186], s[26:27], v[106:107]
	v_add_f64 v[195:196], v[209:210], v[195:196]
	v_mul_f64 v[209:210], v[139:140], s[26:27]
	v_add_f64 v[72:73], v[76:77], v[72:73]
	v_mul_f64 v[76:77], v[149:150], s[16:17]
	v_add_f64 v[74:75], v[78:79], v[74:75]
	v_add_f64 v[84:85], v[84:85], v[245:246]
	;; [unrolled: 1-line block ×3, first 2 shown]
	v_fma_f64 v[181:182], v[149:150], s[26:27], v[118:119]
	v_fma_f64 v[118:119], v[149:150], s[26:27], -v[118:119]
	v_mul_f64 v[78:79], v[187:188], s[2:3]
	v_add_f64 v[149:150], v[80:81], v[151:152]
	v_add_f64 v[151:152], v[80:81], v[173:174]
	v_mul_f64 v[245:246], v[157:158], s[40:41]
	v_add_f64 v[112:113], v[82:83], v[112:113]
	v_add_f64 v[106:107], v[82:83], v[106:107]
	;; [unrolled: 1-line block ×3, first 2 shown]
	v_mul_f64 v[209:210], v[145:146], s[22:23]
	v_add_f64 v[0:1], v[72:73], v[0:1]
	v_add_f64 v[76:77], v[76:77], v[249:250]
	;; [unrolled: 1-line block ×3, first 2 shown]
	v_mul_f64 v[72:73], v[187:188], s[8:9]
	v_mul_f64 v[74:75], v[187:188], s[34:35]
	v_add_f64 v[86:87], v[80:81], v[86:87]
	v_add_f64 v[84:85], v[80:81], v[84:85]
	;; [unrolled: 1-line block ×4, first 2 shown]
	v_add_f64 v[78:79], v[193:194], -v[78:79]
	v_mul_f64 v[193:194], v[169:170], s[40:41]
	v_mul_f64 v[249:250], v[175:176], s[8:9]
	;; [unrolled: 1-line block ×3, first 2 shown]
	v_add_f64 v[203:204], v[209:210], v[203:204]
	v_mul_f64 v[209:210], v[153:154], s[18:19]
	v_add_f64 v[187:188], v[80:81], v[76:77]
	s_clause 0x1
	buffer_load_dword v80, off, s[48:51], 0 offset:28
	buffer_load_dword v81, off, s[48:51], 0 offset:32
	v_add_f64 v[72:73], v[251:252], -v[72:73]
	v_add_f64 v[74:75], v[247:248], -v[74:75]
	v_mul_f64 v[247:248], v[183:184], s[8:9]
	v_mul_f64 v[251:252], v[171:172], s[30:31]
	v_add_f64 v[78:79], v[82:83], v[78:79]
	v_add_f64 v[207:208], v[209:210], v[207:208]
	v_mul_f64 v[209:210], v[171:172], s[40:41]
	v_add_f64 v[187:188], v[195:196], v[187:188]
	v_add_f64 v[173:174], v[82:83], v[72:73]
	v_fma_f64 v[72:73], v[137:138], s[26:27], v[88:89]
	v_add_f64 v[185:186], v[82:83], v[74:75]
	v_fma_f64 v[74:75], v[133:134], s[26:27], -v[90:91]
	v_mov_b32_e32 v82, v177
	v_mov_b32_e32 v83, v178
	v_mul_f64 v[177:178], v[163:164], s[30:31]
	v_fma_f64 v[88:89], v[137:138], s[26:27], -v[88:89]
	v_fma_f64 v[90:91], v[133:134], s[26:27], v[90:91]
	v_add_f64 v[209:210], v[215:216], -v[209:210]
	v_add_f64 v[72:73], v[72:73], v[108:109]
	v_mul_f64 v[108:109], v[159:160], s[38:39]
	v_add_f64 v[74:75], v[74:75], v[149:150]
	v_mul_f64 v[149:150], v[141:142], s[38:39]
	v_add_f64 v[88:89], v[88:89], v[102:103]
	v_add_f64 v[90:91], v[90:91], v[114:115]
	v_fma_f64 v[76:77], v[147:148], s[20:21], v[108:109]
	v_fma_f64 v[108:109], v[147:148], s[20:21], -v[108:109]
	v_add_f64 v[72:73], v[76:77], v[72:73]
	v_fma_f64 v[76:77], v[139:140], s[20:21], -v[149:150]
	v_add_f64 v[88:89], v[108:109], v[88:89]
	v_fma_f64 v[108:109], v[139:140], s[20:21], v[149:150]
	v_add_f64 v[74:75], v[76:77], v[74:75]
	v_fma_f64 v[76:77], v[155:156], s[10:11], v[193:194]
	v_add_f64 v[90:91], v[108:109], v[90:91]
	v_add_f64 v[72:73], v[76:77], v[72:73]
	v_fma_f64 v[76:77], v[145:146], s[10:11], -v[245:246]
	v_add_f64 v[74:75], v[76:77], v[74:75]
	v_fma_f64 v[76:77], v[165:166], s[16:17], v[247:248]
	v_add_f64 v[72:73], v[76:77], v[72:73]
	v_fma_f64 v[76:77], v[153:154], s[16:17], -v[249:250]
	v_add_f64 v[76:77], v[76:77], v[74:75]
	v_fma_f64 v[74:75], v[167:168], s[22:23], v[251:252]
	v_add_f64 v[74:75], v[74:75], v[72:73]
	v_fma_f64 v[72:73], v[161:162], s[22:23], -v[177:178]
	v_add_f64 v[72:73], v[72:73], v[76:77]
	v_mul_f64 v[76:77], v[143:144], s[8:9]
	s_waitcnt vmcnt(0)
	v_add_f64 v[76:77], v[80:81], -v[76:77]
	v_mul_f64 v[80:81], v[133:134], s[16:17]
	v_add_f64 v[76:77], v[76:77], v[78:79]
	v_add_f64 v[80:81], v[80:81], v[82:83]
	v_mul_f64 v[82:83], v[159:160], s[24:25]
	v_add_f64 v[78:79], v[80:81], v[86:87]
	v_add_f64 v[82:83], v[189:190], -v[82:83]
	v_mul_f64 v[189:190], v[139:140], s[18:19]
	v_mul_f64 v[80:81], v[183:184], s[30:31]
	v_add_f64 v[86:87], v[227:228], -v[98:99]
	v_mul_f64 v[98:99], v[161:162], s[26:27]
	v_add_f64 v[76:77], v[82:83], v[76:77]
	v_add_f64 v[179:180], v[189:190], v[179:180]
	v_mul_f64 v[189:190], v[169:170], s[28:29]
	v_mul_f64 v[82:83], v[153:154], s[22:23]
	v_add_f64 v[80:81], v[221:222], -v[80:81]
	v_add_f64 v[98:99], v[98:99], v[219:220]
	v_add_f64 v[78:79], v[179:180], v[78:79]
	v_add_f64 v[189:190], v[199:200], -v[189:190]
	v_mul_f64 v[199:200], v[145:146], s[20:21]
	v_add_f64 v[82:83], v[82:83], v[197:198]
	v_mul_f64 v[179:180], v[145:146], s[26:27]
	v_mul_f64 v[197:198], v[171:172], s[24:25]
	v_add_f64 v[76:77], v[189:190], v[76:77]
	v_add_f64 v[191:192], v[199:200], v[191:192]
	v_mul_f64 v[189:190], v[183:184], s[2:3]
	v_add_f64 v[179:180], v[179:180], v[231:232]
	v_mul_f64 v[199:200], v[163:164], s[24:25]
	v_add_f64 v[76:77], v[80:81], v[76:77]
	v_add_f64 v[78:79], v[191:192], v[78:79]
	v_add_f64 v[189:190], v[241:242], -v[189:190]
	v_add_f64 v[80:81], v[82:83], v[78:79]
	v_add_f64 v[78:79], v[86:87], v[76:77]
	v_mul_f64 v[82:83], v[133:134], s[18:19]
	v_mul_f64 v[86:87], v[159:160], s[42:43]
	v_add_f64 v[76:77], v[98:99], v[80:81]
	v_mul_f64 v[80:81], v[143:144], s[24:25]
	v_add_f64 v[82:83], v[82:83], v[223:224]
	v_mul_f64 v[98:99], v[139:140], s[16:17]
	v_add_f64 v[86:87], v[237:238], -v[86:87]
	v_add_f64 v[80:81], v[229:230], -v[80:81]
	v_add_f64 v[82:83], v[82:83], v[84:85]
	v_add_f64 v[98:99], v[98:99], v[225:226]
	v_mul_f64 v[84:85], v[153:154], s[10:11]
	v_add_f64 v[80:81], v[80:81], v[185:186]
	v_add_f64 v[82:83], v[98:99], v[82:83]
	;; [unrolled: 1-line block ×3, first 2 shown]
	v_mul_f64 v[98:99], v[135:136], s[2:3]
	v_mul_f64 v[135:136], v[135:136], s[30:31]
	v_add_f64 v[80:81], v[86:87], v[80:81]
	v_mul_f64 v[86:87], v[171:172], s[38:39]
	v_add_f64 v[82:83], v[179:180], v[82:83]
	v_add_f64 v[80:81], v[96:97], v[80:81]
	v_mul_f64 v[96:97], v[161:162], s[20:21]
	v_add_f64 v[86:87], v[243:244], -v[86:87]
	v_add_f64 v[84:85], v[84:85], v[82:83]
	v_add_f64 v[80:81], v[189:190], v[80:81]
	;; [unrolled: 1-line block ×5, first 2 shown]
	v_mul_f64 v[96:97], v[143:144], s[2:3]
	v_fma_f64 v[86:87], v[133:134], s[10:11], v[98:99]
	v_fma_f64 v[98:99], v[133:134], s[10:11], -v[98:99]
	v_fma_f64 v[84:85], v[137:138], s[10:11], -v[96:97]
	v_add_f64 v[86:87], v[86:87], v[181:182]
	v_fma_f64 v[96:97], v[137:138], s[10:11], v[96:97]
	v_add_f64 v[98:99], v[98:99], v[118:119]
	v_add_f64 v[84:85], v[84:85], v[112:113]
	v_mul_f64 v[112:113], v[159:160], s[34:35]
	v_mul_f64 v[159:160], v[159:160], s[2:3]
	v_add_f64 v[96:97], v[96:97], v[106:107]
	v_fma_f64 v[179:180], v[147:148], s[22:23], -v[112:113]
	v_fma_f64 v[108:109], v[147:148], s[10:11], v[159:160]
	v_add_f64 v[84:85], v[179:180], v[84:85]
	v_mul_f64 v[179:180], v[141:142], s[34:35]
	v_mul_f64 v[141:142], v[141:142], s[2:3]
	v_fma_f64 v[181:182], v[139:140], s[22:23], v[179:180]
	v_fma_f64 v[106:107], v[139:140], s[10:11], -v[141:142]
	v_add_f64 v[86:87], v[181:182], v[86:87]
	v_mul_f64 v[181:182], v[169:170], s[8:9]
	v_fma_f64 v[185:186], v[155:156], s[16:17], -v[181:182]
	v_fma_f64 v[118:119], v[155:156], s[16:17], v[181:182]
	v_add_f64 v[84:85], v[185:186], v[84:85]
	v_mul_f64 v[185:186], v[157:158], s[8:9]
	v_mul_f64 v[157:158], v[157:158], s[36:37]
	v_fma_f64 v[189:190], v[145:146], s[16:17], v[185:186]
	v_add_f64 v[86:87], v[189:190], v[86:87]
	v_mul_f64 v[189:190], v[183:184], s[38:39]
	v_mul_f64 v[183:184], v[183:184], s[36:37]
	v_fma_f64 v[191:192], v[165:166], s[20:21], -v[189:190]
	v_add_f64 v[183:184], v[217:218], -v[183:184]
	v_add_f64 v[84:85], v[191:192], v[84:85]
	v_fma_f64 v[191:192], v[153:154], s[20:21], v[175:176]
	v_add_f64 v[191:192], v[191:192], v[86:87]
	v_fma_f64 v[86:87], v[167:168], s[18:19], -v[197:198]
	v_add_f64 v[86:87], v[86:87], v[84:85]
	v_fma_f64 v[84:85], v[161:162], s[18:19], v[199:200]
	v_add_f64 v[84:85], v[84:85], v[191:192]
	v_mul_f64 v[191:192], v[143:144], s[28:29]
	v_mul_f64 v[143:144], v[143:144], s[30:31]
	v_add_f64 v[191:192], v[205:206], -v[191:192]
	v_fma_f64 v[102:103], v[137:138], s[22:23], v[143:144]
	v_mul_f64 v[205:206], v[169:170], s[34:35]
	v_mul_f64 v[169:170], v[169:170], s[36:37]
	v_add_f64 v[173:174], v[191:192], v[173:174]
	v_fma_f64 v[191:192], v[137:138], s[22:23], -v[143:144]
	v_add_f64 v[102:103], v[102:103], v[110:111]
	v_add_f64 v[205:206], v[211:212], -v[205:206]
	v_fma_f64 v[110:111], v[147:148], s[22:23], v[112:113]
	v_fma_f64 v[112:113], v[155:156], s[10:11], -v[193:194]
	v_fma_f64 v[114:115], v[155:156], s[18:19], v[169:170]
	v_mul_f64 v[211:212], v[161:162], s[10:11]
	v_add_f64 v[92:93], v[92:93], v[173:174]
	v_add_f64 v[104:105], v[191:192], v[104:105]
	v_fma_f64 v[191:192], v[133:134], s[22:23], v[135:136]
	v_add_f64 v[173:174], v[201:202], v[187:188]
	v_fma_f64 v[187:188], v[147:148], s[10:11], -v[159:160]
	v_add_f64 v[102:103], v[108:109], v[102:103]
	v_fma_f64 v[108:109], v[133:134], s[22:23], -v[135:136]
	v_fma_f64 v[133:134], v[145:146], s[18:19], -v[157:158]
	;; [unrolled: 1-line block ×3, first 2 shown]
	v_add_f64 v[88:89], v[112:113], v[88:89]
	v_add_f64 v[96:97], v[110:111], v[96:97]
	v_fma_f64 v[110:111], v[145:146], s[10:11], v[245:246]
	v_fma_f64 v[112:113], v[153:154], s[16:17], v[249:250]
	v_add_f64 v[211:212], v[211:212], v[213:214]
	v_add_f64 v[92:93], v[205:206], v[92:93]
	;; [unrolled: 1-line block ×5, first 2 shown]
	v_fma_f64 v[187:188], v[139:140], s[10:11], v[141:142]
	v_add_f64 v[108:109], v[108:109], v[151:152]
	v_add_f64 v[102:103], v[114:115], v[102:103]
	v_fma_f64 v[114:115], v[153:154], s[20:21], -v[175:176]
	v_add_f64 v[96:97], v[118:119], v[96:97]
	v_add_f64 v[90:91], v[110:111], v[90:91]
	v_fma_f64 v[110:111], v[165:166], s[20:21], v[189:190]
	v_add_f64 v[92:93], v[183:184], v[92:93]
	v_fma_f64 v[183:184], v[165:166], s[26:27], -v[94:95]
	v_fma_f64 v[94:95], v[165:166], s[26:27], v[94:95]
	v_add_f64 v[173:174], v[207:208], v[173:174]
	v_add_f64 v[116:117], v[187:188], v[116:117]
	v_fma_f64 v[187:188], v[155:156], s[18:19], -v[169:170]
	v_add_f64 v[106:107], v[106:107], v[108:109]
	v_fma_f64 v[108:109], v[139:140], s[22:23], -v[179:180]
	v_fma_f64 v[139:140], v[161:162], s[18:19], -v[199:200]
	v_add_f64 v[112:113], v[112:113], v[90:91]
	v_add_f64 v[110:111], v[110:111], v[96:97]
	v_fma_f64 v[96:97], v[161:162], s[22:23], v[177:178]
	v_add_f64 v[90:91], v[209:210], v[92:93]
	v_add_f64 v[102:103], v[94:95], v[102:103]
	v_add_f64 v[104:105], v[187:188], v[104:105]
	v_add_f64 v[106:107], v[133:134], v[106:107]
	v_add_f64 v[98:99], v[108:109], v[98:99]
	v_fma_f64 v[108:109], v[165:166], s[16:17], -v[247:248]
	v_fma_f64 v[187:188], v[145:146], s[18:19], v[157:158]
	v_fma_f64 v[133:134], v[167:168], s[18:19], v[197:198]
	v_add_f64 v[96:97], v[96:97], v[112:113]
	v_add_f64 v[104:105], v[183:184], v[104:105]
	v_fma_f64 v[183:184], v[153:154], s[26:27], v[100:101]
	v_fma_f64 v[100:101], v[153:154], s[26:27], -v[100:101]
	v_add_f64 v[98:99], v[135:136], v[98:99]
	v_add_f64 v[108:109], v[108:109], v[88:89]
	v_mul_f64 v[88:89], v[171:172], s[8:9]
	v_add_f64 v[116:117], v[187:188], v[116:117]
	v_add_f64 v[100:101], v[100:101], v[106:107]
	v_fma_f64 v[106:107], v[167:168], s[22:23], -v[251:252]
	v_add_f64 v[114:115], v[114:115], v[98:99]
	v_fma_f64 v[94:95], v[167:168], s[16:17], -v[88:89]
	v_fma_f64 v[118:119], v[167:168], s[16:17], v[88:89]
	v_mul_f64 v[88:89], v[163:164], s[8:9]
	v_add_f64 v[116:117], v[183:184], v[116:117]
	v_add_f64 v[98:99], v[106:107], v[108:109]
	s_clause 0x1
	buffer_load_dword v108, off, s[48:51], 0 offset:24
	buffer_load_dword v109, off, s[48:51], 0 offset:4
	v_add_f64 v[94:95], v[94:95], v[104:105]
	v_fma_f64 v[135:136], v[161:162], s[16:17], v[88:89]
	v_fma_f64 v[137:138], v[161:162], s[16:17], -v[88:89]
	v_add_f64 v[88:89], v[211:212], v[173:174]
	v_add_f64 v[102:103], v[118:119], v[102:103]
	;; [unrolled: 1-line block ×6, first 2 shown]
	s_waitcnt vmcnt(1)
	v_and_b32_e32 v108, 0xffff, v108
	s_waitcnt vmcnt(0)
	v_lshl_add_u32 v108, v108, 4, v109
	ds_write_b128 v108, v[0:3]
	ds_write_b128 v108, v[84:87] offset:16
	ds_write_b128 v108, v[76:79] offset:32
	;; [unrolled: 1-line block ×12, first 2 shown]
.LBB0_17:
	s_or_b32 exec_lo, exec_lo, s1
	s_waitcnt lgkmcnt(0)
	s_barrier
	buffer_gl0_inv
	ds_read_b128 v[76:79], v255
	ds_read_b128 v[0:3], v255 offset:624
	ds_read_b128 v[92:95], v255 offset:4160
	;; [unrolled: 1-line block ×8, first 2 shown]
	s_and_saveexec_b32 s1, s0
	s_cbranch_execz .LBB0_19
; %bb.18:
	ds_read_b128 v[128:131], v255 offset:1872
	ds_read_b128 v[124:127], v255 offset:3952
	;; [unrolled: 1-line block ×3, first 2 shown]
.LBB0_19:
	s_or_b32 exec_lo, exec_lo, s1
	s_waitcnt lgkmcnt(4)
	v_mul_f64 v[104:105], v[34:35], v[102:103]
	v_mul_f64 v[106:107], v[30:31], v[94:95]
	v_mul_f64 v[34:35], v[34:35], v[100:101]
	v_mul_f64 v[30:31], v[30:31], v[92:93]
	s_waitcnt lgkmcnt(2)
	v_mul_f64 v[108:109], v[42:43], v[98:99]
	v_mul_f64 v[110:111], v[38:39], v[82:83]
	;; [unrolled: 1-line block ×4, first 2 shown]
	s_waitcnt lgkmcnt(1)
	v_mul_f64 v[112:113], v[22:23], v[86:87]
	s_waitcnt lgkmcnt(0)
	v_mul_f64 v[114:115], v[18:19], v[90:91]
	v_mul_f64 v[22:23], v[22:23], v[84:85]
	;; [unrolled: 1-line block ×3, first 2 shown]
	s_mov_b32 s2, 0xe8584caa
	s_mov_b32 s3, 0xbfebb67a
	;; [unrolled: 1-line block ×4, first 2 shown]
	s_barrier
	buffer_gl0_inv
	v_fma_f64 v[100:101], v[32:33], v[100:101], v[104:105]
	v_fma_f64 v[92:93], v[28:29], v[92:93], v[106:107]
	v_fma_f64 v[32:33], v[32:33], v[102:103], -v[34:35]
	v_fma_f64 v[28:29], v[28:29], v[94:95], -v[30:31]
	v_fma_f64 v[30:31], v[40:41], v[96:97], v[108:109]
	v_fma_f64 v[34:35], v[36:37], v[80:81], v[110:111]
	v_fma_f64 v[40:41], v[40:41], v[98:99], -v[42:43]
	v_fma_f64 v[36:37], v[36:37], v[82:83], -v[38:39]
	;; [unrolled: 4-line block ×3, first 2 shown]
	v_add_f64 v[88:89], v[76:77], v[100:101]
	v_add_f64 v[16:17], v[100:101], v[92:93]
	v_add_f64 v[100:101], v[100:101], -v[92:93]
	v_add_f64 v[18:19], v[32:33], v[28:29]
	v_add_f64 v[90:91], v[32:33], -v[28:29]
	v_add_f64 v[80:81], v[30:31], v[34:35]
	v_add_f64 v[32:33], v[78:79], v[32:33]
	v_add_f64 v[82:83], v[40:41], v[36:37]
	v_add_f64 v[94:95], v[0:1], v[30:31]
	v_add_f64 v[96:97], v[2:3], v[40:41]
	v_add_f64 v[104:105], v[30:31], -v[34:35]
	v_add_f64 v[40:41], v[40:41], -v[36:37]
	v_add_f64 v[98:99], v[72:73], v[38:39]
	v_add_f64 v[84:85], v[38:39], v[42:43]
	v_add_f64 v[108:109], v[38:39], -v[42:43]
	v_add_f64 v[86:87], v[20:21], v[22:23]
	v_add_f64 v[102:103], v[74:75], v[20:21]
	v_add_f64 v[106:107], v[20:21], -v[22:23]
	v_fma_f64 v[76:77], v[16:17], -0.5, v[76:77]
	v_fma_f64 v[78:79], v[18:19], -0.5, v[78:79]
	;; [unrolled: 1-line block ×3, first 2 shown]
	v_add_f64 v[0:1], v[88:89], v[92:93]
	v_fma_f64 v[82:83], v[82:83], -0.5, v[2:3]
	v_add_f64 v[2:3], v[32:33], v[28:29]
	v_add_f64 v[16:17], v[94:95], v[34:35]
	;; [unrolled: 1-line block ×4, first 2 shown]
	v_fma_f64 v[84:85], v[84:85], -0.5, v[72:73]
	v_fma_f64 v[86:87], v[86:87], -0.5, v[74:75]
	v_add_f64 v[22:23], v[102:103], v[22:23]
	v_fma_f64 v[28:29], v[90:91], s[2:3], v[76:77]
	v_fma_f64 v[32:33], v[90:91], s[8:9], v[76:77]
	;; [unrolled: 1-line block ×8, first 2 shown]
	ds_write_b128 v253, v[0:3]
	ds_write_b128 v253, v[28:31] offset:208
	ds_write_b128 v253, v[32:35] offset:416
	buffer_load_dword v0, off, s[48:51], 0 offset:16 ; 4-byte Folded Reload
	v_fma_f64 v[72:73], v[106:107], s[2:3], v[84:85]
	v_fma_f64 v[74:75], v[108:109], s[8:9], v[86:87]
	;; [unrolled: 1-line block ×4, first 2 shown]
	s_waitcnt vmcnt(0)
	ds_write_b128 v0, v[16:19]
	ds_write_b128 v0, v[36:39] offset:208
	ds_write_b128 v0, v[40:43] offset:416
	buffer_load_dword v0, off, s[48:51], 0 offset:12 ; 4-byte Folded Reload
	s_waitcnt vmcnt(0)
	ds_write_b128 v0, v[20:23]
	ds_write_b128 v0, v[72:75] offset:208
	ds_write_b128 v0, v[76:79] offset:416
	s_and_saveexec_b32 s1, s0
	s_cbranch_execz .LBB0_21
; %bb.20:
	v_mul_f64 v[0:1], v[10:11], v[124:125]
	v_mul_f64 v[2:3], v[6:7], v[120:121]
	v_mul_f64 v[10:11], v[10:11], v[126:127]
	v_mul_f64 v[6:7], v[6:7], v[122:123]
	v_fma_f64 v[0:1], v[8:9], v[126:127], -v[0:1]
	v_fma_f64 v[2:3], v[4:5], v[122:123], -v[2:3]
	v_fma_f64 v[8:9], v[8:9], v[124:125], v[10:11]
	v_fma_f64 v[4:5], v[4:5], v[120:121], v[6:7]
	v_add_f64 v[18:19], v[130:131], v[0:1]
	v_add_f64 v[6:7], v[0:1], v[2:3]
	v_add_f64 v[22:23], v[0:1], -v[2:3]
	v_add_f64 v[10:11], v[8:9], v[4:5]
	v_add_f64 v[16:17], v[8:9], -v[4:5]
	v_add_f64 v[8:9], v[128:129], v[8:9]
	v_add_f64 v[2:3], v[18:19], v[2:3]
	v_fma_f64 v[20:21], v[6:7], -0.5, v[130:131]
	v_fma_f64 v[28:29], v[10:11], -0.5, v[128:129]
	v_add_f64 v[0:1], v[8:9], v[4:5]
	v_fma_f64 v[6:7], v[16:17], s[2:3], v[20:21]
	v_fma_f64 v[10:11], v[16:17], s[8:9], v[20:21]
	s_clause 0x1
	buffer_load_dword v16, off, s[48:51], 0 offset:4
	buffer_load_dword v17, off, s[48:51], 0 offset:8
	v_fma_f64 v[8:9], v[22:23], s[2:3], v[28:29]
	v_fma_f64 v[4:5], v[22:23], s[8:9], v[28:29]
	s_waitcnt vmcnt(0)
	v_lshl_add_u32 v16, v17, 4, v16
	ds_write_b128 v16, v[0:3] offset:5616
	ds_write_b128 v16, v[8:11] offset:5824
	;; [unrolled: 1-line block ×3, first 2 shown]
.LBB0_21:
	s_or_b32 exec_lo, exec_lo, s1
	s_waitcnt lgkmcnt(0)
	s_barrier
	buffer_gl0_inv
	ds_read_b128 v[0:3], v255 offset:1872
	ds_read_b128 v[4:7], v255 offset:3120
	;; [unrolled: 1-line block ×9, first 2 shown]
	ds_read_b128 v[72:75], v255
	s_mov_b32 s8, 0x134454ff
	s_mov_b32 s9, 0xbfee6f0e
	;; [unrolled: 1-line block ×10, first 2 shown]
	s_waitcnt lgkmcnt(9)
	v_mul_f64 v[76:77], v[26:27], v[0:1]
	s_waitcnt lgkmcnt(8)
	v_mul_f64 v[78:79], v[50:51], v[4:5]
	s_waitcnt lgkmcnt(7)
	v_mul_f64 v[80:81], v[46:47], v[8:9]
	s_waitcnt lgkmcnt(6)
	v_mul_f64 v[82:83], v[54:55], v[16:17]
	s_waitcnt lgkmcnt(5)
	v_mul_f64 v[84:85], v[14:15], v[20:21]
	v_mul_f64 v[26:27], v[26:27], v[2:3]
	s_waitcnt lgkmcnt(3)
	v_mul_f64 v[88:89], v[66:67], v[34:35]
	v_mul_f64 v[50:51], v[50:51], v[6:7]
	s_waitcnt lgkmcnt(2)
	v_mul_f64 v[90:91], v[62:63], v[38:39]
	s_waitcnt lgkmcnt(1)
	v_mul_f64 v[92:93], v[58:59], v[40:41]
	v_mul_f64 v[62:63], v[62:63], v[36:37]
	;; [unrolled: 1-line block ×9, first 2 shown]
	s_mov_b32 s18, 0x9b97f4a8
	s_mov_b32 s19, 0x3fe9e377
	;; [unrolled: 1-line block ×4, first 2 shown]
	v_fma_f64 v[2:3], v[24:25], v[2:3], -v[76:77]
	v_fma_f64 v[6:7], v[48:49], v[6:7], -v[78:79]
	;; [unrolled: 1-line block ×5, first 2 shown]
	v_fma_f64 v[0:1], v[24:25], v[0:1], v[26:27]
	v_fma_f64 v[24:25], v[64:65], v[32:33], v[88:89]
	;; [unrolled: 1-line block ×4, first 2 shown]
	s_mov_b32 s23, 0xbfe9e377
	v_fma_f64 v[36:37], v[60:61], v[38:39], -v[62:63]
	v_fma_f64 v[8:9], v[44:45], v[8:9], v[46:47]
	v_fma_f64 v[38:39], v[56:57], v[40:41], v[58:59]
	v_fma_f64 v[16:17], v[52:53], v[16:17], v[54:55]
	v_fma_f64 v[26:27], v[64:65], v[34:35], -v[66:67]
	v_fma_f64 v[34:35], v[56:57], v[42:43], -v[92:93]
	v_fma_f64 v[28:29], v[68:69], v[28:29], v[86:87]
	v_fma_f64 v[30:31], v[68:69], v[30:31], -v[70:71]
	v_fma_f64 v[12:13], v[12:13], v[20:21], v[14:15]
	s_mov_b32 s22, s18
	v_add_f64 v[84:85], v[2:3], -v[6:7]
	v_add_f64 v[40:41], v[6:7], v[10:11]
	v_add_f64 v[42:43], v[2:3], v[18:19]
	v_add_f64 v[82:83], v[2:3], -v[18:19]
	v_add_f64 v[86:87], v[18:19], -v[10:11]
	v_add_f64 v[92:93], v[6:7], -v[10:11]
	v_add_f64 v[88:89], v[6:7], -v[2:3]
	v_add_f64 v[20:21], v[24:25], v[32:33]
	v_add_f64 v[90:91], v[10:11], -v[18:19]
	v_add_f64 v[2:3], v[22:23], v[2:3]
	v_add_f64 v[52:53], v[4:5], v[8:9]
	v_add_f64 v[58:59], v[4:5], -v[8:9]
	v_add_f64 v[54:55], v[0:1], v[16:17]
	v_add_f64 v[56:57], v[0:1], -v[16:17]
	v_add_f64 v[50:51], v[38:39], -v[32:33]
	s_waitcnt lgkmcnt(0)
	v_add_f64 v[14:15], v[72:73], v[28:29]
	v_add_f64 v[48:49], v[28:29], -v[24:25]
	v_add_f64 v[60:61], v[28:29], v[38:39]
	v_add_f64 v[68:69], v[26:27], v[36:37]
	;; [unrolled: 1-line block ×4, first 2 shown]
	v_add_f64 v[44:45], v[30:31], -v[34:35]
	v_add_f64 v[46:47], v[26:27], -v[36:37]
	v_fma_f64 v[40:41], v[40:41], -0.5, v[22:23]
	v_fma_f64 v[42:43], v[42:43], -0.5, v[22:23]
	v_add_f64 v[62:63], v[24:25], -v[28:29]
	v_add_f64 v[64:65], v[32:33], -v[38:39]
	;; [unrolled: 1-line block ×6, first 2 shown]
	v_fma_f64 v[20:21], v[20:21], -0.5, v[72:73]
	v_fma_f64 v[52:53], v[52:53], -0.5, v[12:13]
	v_add_f64 v[104:105], v[8:9], -v[16:17]
	v_fma_f64 v[54:55], v[54:55], -0.5, v[12:13]
	v_add_f64 v[12:13], v[12:13], v[0:1]
	v_add_f64 v[0:1], v[4:5], -v[0:1]
	v_add_f64 v[14:15], v[14:15], v[24:25]
	v_add_f64 v[24:25], v[48:49], v[50:51]
	v_fma_f64 v[22:23], v[60:61], -0.5, v[72:73]
	v_fma_f64 v[48:49], v[68:69], -0.5, v[74:75]
	;; [unrolled: 1-line block ×3, first 2 shown]
	v_add_f64 v[60:61], v[84:85], v[86:87]
	v_add_f64 v[68:69], v[88:89], v[90:91]
	v_add_f64 v[76:77], v[30:31], -v[26:27]
	v_fma_f64 v[96:97], v[56:57], s[2:3], v[40:41]
	v_fma_f64 v[98:99], v[58:59], s[8:9], v[42:43]
	;; [unrolled: 1-line block ×4, first 2 shown]
	v_add_f64 v[30:31], v[26:27], -v[30:31]
	v_add_f64 v[26:27], v[66:67], v[26:27]
	v_add_f64 v[2:3], v[2:3], v[6:7]
	v_add_f64 v[78:79], v[34:35], -v[36:37]
	v_fma_f64 v[6:7], v[44:45], s[8:9], v[20:21]
	v_fma_f64 v[72:73], v[82:83], s[8:9], v[52:53]
	;; [unrolled: 1-line block ×5, first 2 shown]
	v_add_f64 v[4:5], v[12:13], v[4:5]
	v_add_f64 v[12:13], v[100:101], v[102:103]
	v_fma_f64 v[20:21], v[44:45], s[2:3], v[20:21]
	v_add_f64 v[94:95], v[36:37], -v[34:35]
	v_add_f64 v[0:1], v[0:1], v[104:105]
	v_add_f64 v[14:15], v[14:15], v[32:33]
	v_fma_f64 v[80:81], v[58:59], s[16:17], v[96:97]
	v_fma_f64 v[84:85], v[56:57], s[16:17], v[98:99]
	;; [unrolled: 1-line block ×4, first 2 shown]
	v_add_f64 v[56:57], v[62:63], v[64:65]
	v_fma_f64 v[58:59], v[46:47], s[2:3], v[22:23]
	v_fma_f64 v[22:23], v[46:47], s[8:9], v[22:23]
	;; [unrolled: 1-line block ×10, first 2 shown]
	v_add_f64 v[26:27], v[26:27], v[36:37]
	v_add_f64 v[4:5], v[4:5], v[8:9]
	;; [unrolled: 1-line block ×3, first 2 shown]
	v_fma_f64 v[6:7], v[46:47], s[10:11], v[6:7]
	v_fma_f64 v[8:9], v[46:47], s[16:17], v[20:21]
	v_add_f64 v[30:31], v[30:31], v[94:95]
	v_add_f64 v[14:15], v[14:15], v[38:39]
	v_fma_f64 v[74:75], v[60:61], s[0:1], v[80:81]
	v_fma_f64 v[80:81], v[68:69], s[0:1], v[84:85]
	;; [unrolled: 1-line block ×4, first 2 shown]
	v_add_f64 v[60:61], v[76:77], v[78:79]
	v_fma_f64 v[10:11], v[44:45], s[10:11], v[58:59]
	v_fma_f64 v[20:21], v[44:45], s[16:17], v[22:23]
	;; [unrolled: 1-line block ×10, first 2 shown]
	v_add_f64 v[26:27], v[26:27], v[34:35]
	v_add_f64 v[4:5], v[4:5], v[16:17]
	;; [unrolled: 1-line block ×3, first 2 shown]
	v_fma_f64 v[34:35], v[24:25], s[0:1], v[6:7]
	v_fma_f64 v[38:39], v[24:25], s[0:1], v[8:9]
	v_mul_f64 v[48:49], v[74:75], s[10:11]
	v_mul_f64 v[58:59], v[74:75], s[18:19]
	;; [unrolled: 1-line block ×8, first 2 shown]
	v_fma_f64 v[66:67], v[60:61], s[0:1], v[22:23]
	v_fma_f64 v[64:65], v[56:57], s[0:1], v[10:11]
	v_fma_f64 v[68:69], v[30:31], s[0:1], v[36:37]
	v_fma_f64 v[56:57], v[56:57], s[0:1], v[20:21]
	v_fma_f64 v[70:71], v[30:31], s[0:1], v[28:29]
	v_fma_f64 v[60:61], v[60:61], s[0:1], v[32:33]
	v_add_f64 v[2:3], v[26:27], v[16:17]
	v_add_f64 v[6:7], v[26:27], -v[16:17]
	v_fma_f64 v[24:25], v[44:45], s[18:19], v[48:49]
	v_fma_f64 v[44:45], v[44:45], s[16:17], v[58:59]
	;; [unrolled: 1-line block ×8, first 2 shown]
	v_add_f64 v[0:1], v[14:15], v[4:5]
	v_add_f64 v[4:5], v[14:15], -v[4:5]
	v_add_f64 v[8:9], v[34:35], v[24:25]
	v_add_f64 v[10:11], v[66:67], v[44:45]
	;; [unrolled: 1-line block ×8, first 2 shown]
	v_add_f64 v[24:25], v[34:35], -v[24:25]
	v_add_f64 v[26:27], v[66:67], -v[44:45]
	;; [unrolled: 1-line block ×8, first 2 shown]
	ds_write_b128 v254, v[0:3]
	ds_write_b128 v254, v[4:7] offset:3120
	ds_write_b128 v254, v[8:11] offset:624
	;; [unrolled: 1-line block ×9, first 2 shown]
	s_waitcnt lgkmcnt(0)
	s_barrier
	buffer_gl0_inv
	s_and_b32 exec_lo, exec_lo, vcc_lo
	s_cbranch_execz .LBB0_23
; %bb.22:
	buffer_load_dword v16, off, s[48:51], 0 ; 4-byte Folded Reload
	v_mad_u64_u32 v[48:49], null, s6, v132, 0
	s_mul_hi_u32 s1, s4, 0x1e0
	s_mul_i32 s2, s4, 0x1e0
	s_waitcnt vmcnt(0)
	s_clause 0x1
	global_load_dwordx4 v[0:3], v16, s[14:15]
	global_load_dwordx4 v[4:7], v16, s[14:15] offset:480
	v_add_co_u32 v28, s0, s14, v16
	v_add_co_ci_u32_e64 v29, null, s15, 0, s0
	s_mul_i32 s0, s5, 0x1e0
	v_add_co_u32 v32, vcc_lo, 0x800, v28
	v_add_co_ci_u32_e32 v33, vcc_lo, 0, v29, vcc_lo
	v_add_co_u32 v96, vcc_lo, 0x1000, v28
	v_add_co_ci_u32_e32 v97, vcc_lo, 0, v29, vcc_lo
	s_clause 0x9
	global_load_dwordx4 v[8:11], v16, s[14:15] offset:960
	global_load_dwordx4 v[12:15], v16, s[14:15] offset:1440
	;; [unrolled: 1-line block ×3, first 2 shown]
	global_load_dwordx4 v[20:23], v[32:33], off offset:352
	global_load_dwordx4 v[24:27], v[32:33], off offset:832
	;; [unrolled: 1-line block ×7, first 2 shown]
	buffer_load_dword v54, off, s[48:51], 0 offset:20 ; 4-byte Folded Reload
	s_add_i32 s3, s1, s0
	s_mov_b32 s0, 0x15015015
	s_mov_b32 s1, 0x3f650150
	s_waitcnt vmcnt(0)
	v_mad_u64_u32 v[50:51], null, s4, v54, 0
	v_mad_u64_u32 v[52:53], null, s7, v132, v[49:50]
	;; [unrolled: 1-line block ×3, first 2 shown]
	v_mov_b32_e32 v49, v52
	v_lshlrev_b64 v[48:49], 4, v[48:49]
	v_mov_b32_e32 v51, v53
	v_add_co_u32 v48, vcc_lo, s12, v48
	v_lshlrev_b64 v[50:51], 4, v[50:51]
	v_add_co_ci_u32_e32 v49, vcc_lo, s13, v49, vcc_lo
	v_add_co_u32 v98, vcc_lo, v48, v50
	v_add_co_ci_u32_e32 v99, vcc_lo, v49, v51, vcc_lo
	ds_read_b128 v[48:51], v254
	ds_read_b128 v[52:55], v254 offset:480
	ds_read_b128 v[56:59], v254 offset:960
	;; [unrolled: 1-line block ×11, first 2 shown]
	v_add_co_u32 v100, vcc_lo, v98, s2
	v_add_co_ci_u32_e32 v101, vcc_lo, s3, v99, vcc_lo
	v_add_co_u32 v102, vcc_lo, v100, s2
	v_add_co_ci_u32_e32 v103, vcc_lo, s3, v101, vcc_lo
	;; [unrolled: 2-line block ×3, first 2 shown]
	s_waitcnt lgkmcnt(11)
	v_mul_f64 v[118:119], v[50:51], v[2:3]
	v_mul_f64 v[2:3], v[48:49], v[2:3]
	s_waitcnt lgkmcnt(10)
	v_mul_f64 v[120:121], v[54:55], v[6:7]
	v_mul_f64 v[6:7], v[52:53], v[6:7]
	;; [unrolled: 3-line block ×12, first 2 shown]
	v_fma_f64 v[48:49], v[48:49], v[0:1], v[118:119]
	v_fma_f64 v[2:3], v[0:1], v[50:51], -v[2:3]
	v_fma_f64 v[50:51], v[52:53], v[4:5], v[120:121]
	v_fma_f64 v[6:7], v[4:5], v[54:55], -v[6:7]
	;; [unrolled: 2-line block ×7, first 2 shown]
	v_add_co_u32 v106, vcc_lo, v104, s2
	v_fma_f64 v[62:63], v[76:77], v[28:29], v[132:133]
	v_fma_f64 v[30:31], v[28:29], v[78:79], -v[30:31]
	v_fma_f64 v[64:65], v[80:81], v[32:33], v[134:135]
	v_fma_f64 v[34:35], v[32:33], v[82:83], -v[34:35]
	v_add_co_ci_u32_e32 v107, vcc_lo, s3, v105, vcc_lo
	v_fma_f64 v[66:67], v[84:85], v[36:37], v[136:137]
	v_fma_f64 v[38:39], v[36:37], v[86:87], -v[38:39]
	v_fma_f64 v[68:69], v[88:89], v[40:41], v[138:139]
	v_fma_f64 v[42:43], v[40:41], v[90:91], -v[42:43]
	;; [unrolled: 2-line block ×3, first 2 shown]
	v_add_co_u32 v108, vcc_lo, v106, s2
	v_add_co_ci_u32_e32 v109, vcc_lo, s3, v107, vcc_lo
	v_mul_f64 v[0:1], v[48:49], s[0:1]
	v_add_co_u32 v110, vcc_lo, v108, s2
	v_add_co_ci_u32_e32 v111, vcc_lo, s3, v109, vcc_lo
	v_mul_f64 v[2:3], v[2:3], s[0:1]
	v_add_co_u32 v112, vcc_lo, v110, s2
	v_mul_f64 v[4:5], v[50:51], s[0:1]
	v_mul_f64 v[6:7], v[6:7], s[0:1]
	v_add_co_ci_u32_e32 v113, vcc_lo, s3, v111, vcc_lo
	v_mul_f64 v[8:9], v[52:53], s[0:1]
	v_mul_f64 v[10:11], v[10:11], s[0:1]
	;; [unrolled: 1-line block ×6, first 2 shown]
	v_add_co_u32 v114, vcc_lo, v112, s2
	v_mul_f64 v[20:21], v[58:59], s[0:1]
	v_mul_f64 v[22:23], v[22:23], s[0:1]
	;; [unrolled: 1-line block ×4, first 2 shown]
	v_add_co_ci_u32_e32 v115, vcc_lo, s3, v113, vcc_lo
	v_mul_f64 v[28:29], v[62:63], s[0:1]
	v_mul_f64 v[30:31], v[30:31], s[0:1]
	;; [unrolled: 1-line block ×6, first 2 shown]
	v_add_co_u32 v116, vcc_lo, v114, s2
	v_mul_f64 v[40:41], v[68:69], s[0:1]
	v_mul_f64 v[42:43], v[42:43], s[0:1]
	;; [unrolled: 1-line block ×4, first 2 shown]
	v_add_co_ci_u32_e32 v117, vcc_lo, s3, v115, vcc_lo
	v_add_co_u32 v48, vcc_lo, v116, s2
	v_add_co_ci_u32_e32 v49, vcc_lo, s3, v117, vcc_lo
	v_add_co_u32 v50, vcc_lo, v48, s2
	v_add_co_ci_u32_e32 v51, vcc_lo, s3, v49, vcc_lo
	global_store_dwordx4 v[98:99], v[0:3], off
	global_store_dwordx4 v[100:101], v[4:7], off
	;; [unrolled: 1-line block ×12, first 2 shown]
	global_load_dwordx4 v[0:3], v[96:97], off offset:1664
	ds_read_b128 v[4:7], v254 offset:5760
	s_waitcnt vmcnt(0) lgkmcnt(0)
	v_mul_f64 v[8:9], v[6:7], v[2:3]
	v_mul_f64 v[2:3], v[4:5], v[2:3]
	v_fma_f64 v[4:5], v[4:5], v[0:1], v[8:9]
	v_fma_f64 v[2:3], v[0:1], v[6:7], -v[2:3]
	v_mul_f64 v[0:1], v[4:5], s[0:1]
	v_mul_f64 v[2:3], v[2:3], s[0:1]
	v_add_co_u32 v4, vcc_lo, v50, s2
	v_add_co_ci_u32_e32 v5, vcc_lo, s3, v51, vcc_lo
	global_store_dwordx4 v[4:5], v[0:3], off
.LBB0_23:
	s_endpgm
	.section	.rodata,"a",@progbits
	.p2align	6, 0x0
	.amdhsa_kernel bluestein_single_back_len390_dim1_dp_op_CI_CI
		.amdhsa_group_segment_fixed_size 18720
		.amdhsa_private_segment_fixed_size 40
		.amdhsa_kernarg_size 104
		.amdhsa_user_sgpr_count 6
		.amdhsa_user_sgpr_private_segment_buffer 1
		.amdhsa_user_sgpr_dispatch_ptr 0
		.amdhsa_user_sgpr_queue_ptr 0
		.amdhsa_user_sgpr_kernarg_segment_ptr 1
		.amdhsa_user_sgpr_dispatch_id 0
		.amdhsa_user_sgpr_flat_scratch_init 0
		.amdhsa_user_sgpr_private_segment_size 0
		.amdhsa_wavefront_size32 1
		.amdhsa_uses_dynamic_stack 0
		.amdhsa_system_sgpr_private_segment_wavefront_offset 1
		.amdhsa_system_sgpr_workgroup_id_x 1
		.amdhsa_system_sgpr_workgroup_id_y 0
		.amdhsa_system_sgpr_workgroup_id_z 0
		.amdhsa_system_sgpr_workgroup_info 0
		.amdhsa_system_vgpr_workitem_id 0
		.amdhsa_next_free_vgpr 256
		.amdhsa_next_free_sgpr 52
		.amdhsa_reserve_vcc 1
		.amdhsa_reserve_flat_scratch 0
		.amdhsa_float_round_mode_32 0
		.amdhsa_float_round_mode_16_64 0
		.amdhsa_float_denorm_mode_32 3
		.amdhsa_float_denorm_mode_16_64 3
		.amdhsa_dx10_clamp 1
		.amdhsa_ieee_mode 1
		.amdhsa_fp16_overflow 0
		.amdhsa_workgroup_processor_mode 1
		.amdhsa_memory_ordered 1
		.amdhsa_forward_progress 0
		.amdhsa_shared_vgpr_count 0
		.amdhsa_exception_fp_ieee_invalid_op 0
		.amdhsa_exception_fp_denorm_src 0
		.amdhsa_exception_fp_ieee_div_zero 0
		.amdhsa_exception_fp_ieee_overflow 0
		.amdhsa_exception_fp_ieee_underflow 0
		.amdhsa_exception_fp_ieee_inexact 0
		.amdhsa_exception_int_div_zero 0
	.end_amdhsa_kernel
	.text
.Lfunc_end0:
	.size	bluestein_single_back_len390_dim1_dp_op_CI_CI, .Lfunc_end0-bluestein_single_back_len390_dim1_dp_op_CI_CI
                                        ; -- End function
	.section	.AMDGPU.csdata,"",@progbits
; Kernel info:
; codeLenInByte = 18356
; NumSgprs: 54
; NumVgprs: 256
; ScratchSize: 40
; MemoryBound: 0
; FloatMode: 240
; IeeeMode: 1
; LDSByteSize: 18720 bytes/workgroup (compile time only)
; SGPRBlocks: 6
; VGPRBlocks: 31
; NumSGPRsForWavesPerEU: 54
; NumVGPRsForWavesPerEU: 256
; Occupancy: 4
; WaveLimiterHint : 1
; COMPUTE_PGM_RSRC2:SCRATCH_EN: 1
; COMPUTE_PGM_RSRC2:USER_SGPR: 6
; COMPUTE_PGM_RSRC2:TRAP_HANDLER: 0
; COMPUTE_PGM_RSRC2:TGID_X_EN: 1
; COMPUTE_PGM_RSRC2:TGID_Y_EN: 0
; COMPUTE_PGM_RSRC2:TGID_Z_EN: 0
; COMPUTE_PGM_RSRC2:TIDIG_COMP_CNT: 0
	.text
	.p2alignl 6, 3214868480
	.fill 48, 4, 3214868480
	.type	__hip_cuid_ae297b83e0b507b7,@object ; @__hip_cuid_ae297b83e0b507b7
	.section	.bss,"aw",@nobits
	.globl	__hip_cuid_ae297b83e0b507b7
__hip_cuid_ae297b83e0b507b7:
	.byte	0                               ; 0x0
	.size	__hip_cuid_ae297b83e0b507b7, 1

	.ident	"AMD clang version 19.0.0git (https://github.com/RadeonOpenCompute/llvm-project roc-6.4.0 25133 c7fe45cf4b819c5991fe208aaa96edf142730f1d)"
	.section	".note.GNU-stack","",@progbits
	.addrsig
	.addrsig_sym __hip_cuid_ae297b83e0b507b7
	.amdgpu_metadata
---
amdhsa.kernels:
  - .args:
      - .actual_access:  read_only
        .address_space:  global
        .offset:         0
        .size:           8
        .value_kind:     global_buffer
      - .actual_access:  read_only
        .address_space:  global
        .offset:         8
        .size:           8
        .value_kind:     global_buffer
      - .actual_access:  read_only
        .address_space:  global
        .offset:         16
        .size:           8
        .value_kind:     global_buffer
      - .actual_access:  read_only
        .address_space:  global
        .offset:         24
        .size:           8
        .value_kind:     global_buffer
      - .actual_access:  read_only
        .address_space:  global
        .offset:         32
        .size:           8
        .value_kind:     global_buffer
      - .offset:         40
        .size:           8
        .value_kind:     by_value
      - .address_space:  global
        .offset:         48
        .size:           8
        .value_kind:     global_buffer
      - .address_space:  global
        .offset:         56
        .size:           8
        .value_kind:     global_buffer
      - .address_space:  global
        .offset:         64
        .size:           8
        .value_kind:     global_buffer
      - .address_space:  global
        .offset:         72
        .size:           8
        .value_kind:     global_buffer
      - .offset:         80
        .size:           4
        .value_kind:     by_value
      - .address_space:  global
        .offset:         88
        .size:           8
        .value_kind:     global_buffer
      - .address_space:  global
        .offset:         96
        .size:           8
        .value_kind:     global_buffer
    .group_segment_fixed_size: 18720
    .kernarg_segment_align: 8
    .kernarg_segment_size: 104
    .language:       OpenCL C
    .language_version:
      - 2
      - 0
    .max_flat_workgroup_size: 117
    .name:           bluestein_single_back_len390_dim1_dp_op_CI_CI
    .private_segment_fixed_size: 40
    .sgpr_count:     54
    .sgpr_spill_count: 0
    .symbol:         bluestein_single_back_len390_dim1_dp_op_CI_CI.kd
    .uniform_work_group_size: 1
    .uses_dynamic_stack: false
    .vgpr_count:     256
    .vgpr_spill_count: 9
    .wavefront_size: 32
    .workgroup_processor_mode: 1
amdhsa.target:   amdgcn-amd-amdhsa--gfx1030
amdhsa.version:
  - 1
  - 2
...

	.end_amdgpu_metadata
